;; amdgpu-corpus repo=ROCm/rocFFT kind=compiled arch=gfx906 opt=O3
	.text
	.amdgcn_target "amdgcn-amd-amdhsa--gfx906"
	.amdhsa_code_object_version 6
	.protected	bluestein_single_fwd_len1078_dim1_dp_op_CI_CI ; -- Begin function bluestein_single_fwd_len1078_dim1_dp_op_CI_CI
	.globl	bluestein_single_fwd_len1078_dim1_dp_op_CI_CI
	.p2align	8
	.type	bluestein_single_fwd_len1078_dim1_dp_op_CI_CI,@function
bluestein_single_fwd_len1078_dim1_dp_op_CI_CI: ; @bluestein_single_fwd_len1078_dim1_dp_op_CI_CI
; %bb.0:
	v_mul_u32_u24_e32 v1, 0x354, v0
	s_mov_b64 s[42:43], s[2:3]
	s_load_dwordx4 s[16:19], s[4:5], 0x28
	v_lshrrev_b32_e32 v1, 16, v1
	s_mov_b64 s[40:41], s[0:1]
	v_mad_u64_u32 v[228:229], s[0:1], s6, 3, v[1:2]
	v_mov_b32_e32 v229, 0
	s_add_u32 s40, s40, s7
	s_waitcnt lgkmcnt(0)
	v_cmp_gt_u64_e32 vcc, s[16:17], v[228:229]
	s_addc_u32 s41, s41, 0
	s_and_saveexec_b64 s[0:1], vcc
	s_cbranch_execz .LBB0_10
; %bb.1:
	s_load_dwordx4 s[0:3], s[4:5], 0x18
	s_load_dwordx4 s[8:11], s[4:5], 0x0
	v_mul_lo_u16_e32 v1, 0x4d, v1
	v_sub_u16_e32 v96, v0, v1
	v_lshlrev_b32_e32 v64, 4, v96
	s_waitcnt lgkmcnt(0)
	s_load_dwordx4 s[12:15], s[0:1], 0x0
	s_movk_i32 s6, 0x2000
                                        ; implicit-def: $vgpr140_vgpr141
	s_waitcnt lgkmcnt(0)
	v_mad_u64_u32 v[0:1], s[0:1], s14, v228, 0
	v_mad_u64_u32 v[2:3], s[0:1], s12, v96, 0
	s_mul_hi_u32 s7, s12, 0xffffe320
	s_sub_i32 s7, s7, s12
	v_mad_u64_u32 v[4:5], s[0:1], s15, v228, v[1:2]
	v_mad_u64_u32 v[5:6], s[0:1], s13, v96, v[3:4]
	v_mov_b32_e32 v1, v4
	v_lshlrev_b64 v[0:1], 4, v[0:1]
	v_mov_b32_e32 v3, v5
	v_mov_b32_e32 v6, s19
	v_lshlrev_b64 v[2:3], 4, v[2:3]
	v_add_co_u32_e32 v0, vcc, s18, v0
	v_addc_co_u32_e32 v1, vcc, v6, v1, vcc
	v_add_co_u32_e32 v8, vcc, v0, v2
	v_addc_co_u32_e32 v9, vcc, v1, v3, vcc
	v_mov_b32_e32 v0, s9
	v_add_co_u32_e32 v38, vcc, s8, v64
	s_mul_i32 s0, s13, 0x21b0
	s_mul_hi_u32 s1, s12, 0x21b0
	v_addc_co_u32_e32 v39, vcc, 0, v0, vcc
	s_add_i32 s0, s1, s0
	s_mul_i32 s1, s12, 0x21b0
	v_mov_b32_e32 v0, s0
	v_add_co_u32_e32 v10, vcc, s1, v8
	v_addc_co_u32_e32 v11, vcc, v9, v0, vcc
	v_add_co_u32_e32 v24, vcc, s6, v38
	s_mul_i32 s6, s13, 0xffffe320
	v_addc_co_u32_e32 v25, vcc, 0, v39, vcc
	s_add_i32 s6, s7, s6
	s_mul_i32 s7, s12, 0xffffe320
	global_load_dwordx4 v[0:3], v[8:9], off
	global_load_dwordx4 v[4:7], v[10:11], off
	v_mov_b32_e32 v8, s6
	v_add_co_u32_e32 v16, vcc, s7, v10
	v_addc_co_u32_e32 v17, vcc, v11, v8, vcc
	global_load_dwordx4 v[121:124], v64, s[8:9]
	global_load_dwordx4 v[72:75], v64, s[8:9] offset:1232
	v_mov_b32_e32 v8, s0
	v_add_co_u32_e32 v18, vcc, s1, v16
	v_addc_co_u32_e32 v19, vcc, v17, v8, vcc
	global_load_dwordx4 v[8:11], v[16:17], off
	global_load_dwordx4 v[12:15], v[18:19], off
	global_load_dwordx4 v[66:69], v[24:25], off offset:432
	global_load_dwordx4 v[76:79], v[24:25], off offset:1664
	v_mov_b32_e32 v16, s6
	v_add_co_u32_e32 v20, vcc, s7, v18
	v_addc_co_u32_e32 v21, vcc, v19, v16, vcc
	v_mov_b32_e32 v22, s0
	v_add_co_u32_e32 v26, vcc, s1, v20
	v_addc_co_u32_e32 v27, vcc, v21, v22, vcc
	global_load_dwordx4 v[16:19], v[20:21], off
	s_nop 0
	global_load_dwordx4 v[20:23], v[26:27], off
	global_load_dwordx4 v[80:83], v[24:25], off offset:2896
	v_mov_b32_e32 v24, s6
	v_add_co_u32_e32 v28, vcc, s7, v26
	v_addc_co_u32_e32 v29, vcc, v27, v24, vcc
	v_mov_b32_e32 v30, s0
	v_add_co_u32_e32 v32, vcc, s1, v28
	v_addc_co_u32_e32 v33, vcc, v29, v30, vcc
	s_movk_i32 s12, 0x3000
	v_add_co_u32_e32 v56, vcc, s12, v38
	v_addc_co_u32_e32 v57, vcc, 0, v39, vcc
	v_mov_b32_e32 v34, s6
	v_add_co_u32_e32 v36, vcc, s7, v32
	v_addc_co_u32_e32 v37, vcc, v33, v34, vcc
	s_movk_i32 s12, 0x1000
	v_add_co_u32_e32 v52, vcc, s12, v38
	v_addc_co_u32_e32 v53, vcc, 0, v39, vcc
	v_mov_b32_e32 v38, s0
	v_add_co_u32_e32 v40, vcc, s1, v36
	v_addc_co_u32_e32 v41, vcc, v37, v38, vcc
	v_mov_b32_e32 v42, s6
	;; [unrolled: 3-line block ×4, first 2 shown]
	v_add_co_u32_e32 v54, vcc, s7, v48
	v_addc_co_u32_e32 v55, vcc, v49, v50, vcc
	global_load_dwordx4 v[24:27], v[28:29], off
	global_load_dwordx4 v[88:91], v64, s[8:9] offset:2464
	global_load_dwordx4 v[84:87], v64, s[8:9] offset:3696
	v_add_co_u32_e32 v58, vcc, s1, v54
	global_load_dwordx4 v[28:31], v[32:33], off
	s_load_dwordx2 s[12:13], s[4:5], 0x38
	global_load_dwordx4 v[32:35], v[36:37], off
	s_nop 0
	global_load_dwordx4 v[36:39], v[40:41], off
	global_load_dwordx4 v[105:108], v[56:57], off offset:32
	global_load_dwordx4 v[92:95], v[56:57], off offset:1264
	s_nop 0
	global_load_dwordx4 v[40:43], v[44:45], off
	global_load_dwordx4 v[113:116], v[52:53], off offset:832
	global_load_dwordx4 v[101:104], v[52:53], off offset:2064
	s_nop 0
	global_load_dwordx4 v[44:47], v[48:49], off
	global_load_dwordx4 v[97:100], v[56:57], off offset:2496
	s_nop 0
	global_load_dwordx4 v[48:51], v[54:55], off
	global_load_dwordx4 v[109:112], v[52:53], off offset:3296
	v_mov_b32_e32 v52, s0
	v_addc_co_u32_e32 v59, vcc, v55, v52, vcc
	global_load_dwordx4 v[52:55], v[58:59], off
	global_load_dwordx4 v[117:120], v[56:57], off offset:3728
	s_mov_b32 s0, 0xaaaaaaab
	s_waitcnt vmcnt(25)
	v_mul_f64 v[56:57], v[2:3], v[123:124]
	v_mul_hi_u32 v58, v228, s0
	s_load_dwordx4 s[4:7], s[2:3], 0x0
	s_movk_i32 s0, 0x4d
	v_add_co_u32_e32 v229, vcc, s0, v96
	s_waitcnt vmcnt(21)
	v_mul_f64 v[60:61], v[6:7], v[68:69]
	v_lshrrev_b32_e32 v58, 1, v58
	v_lshl_add_u32 v65, v58, 1, v58
	v_mul_f64 v[58:59], v[0:1], v[123:124]
	v_fma_f64 v[0:1], v[0:1], v[121:122], v[56:57]
	buffer_store_dword v121, off, s[40:43], 0 offset:216 ; 4-byte Folded Spill
	s_nop 0
	buffer_store_dword v122, off, s[40:43], 0 offset:220 ; 4-byte Folded Spill
	buffer_store_dword v123, off, s[40:43], 0 offset:224 ; 4-byte Folded Spill
	;; [unrolled: 1-line block ×3, first 2 shown]
	v_mul_f64 v[62:63], v[4:5], v[68:69]
	v_sub_u32_e32 v65, v228, v65
	v_fma_f64 v[4:5], v[4:5], v[66:67], v[60:61]
	buffer_store_dword v66, off, s[40:43], 0 offset:40 ; 4-byte Folded Spill
	s_nop 0
	buffer_store_dword v67, off, s[40:43], 0 offset:44 ; 4-byte Folded Spill
	buffer_store_dword v68, off, s[40:43], 0 offset:48 ; 4-byte Folded Spill
	;; [unrolled: 1-line block ×3, first 2 shown]
	v_mul_u32_u24_e32 v65, 0x436, v65
	v_mul_f64 v[56:57], v[10:11], v[74:75]
	v_lshlrev_b32_e32 v125, 4, v65
	s_waitcnt vmcnt(28)
	v_mul_f64 v[60:61], v[14:15], v[78:79]
	v_add_u32_e32 v230, v64, v125
	s_waitcnt vmcnt(25)
	v_mul_f64 v[68:69], v[22:23], v[82:83]
	v_mul_f64 v[70:71], v[20:21], v[82:83]
	v_cmp_gt_u16_e32 vcc, 21, v96
	v_fma_f64 v[20:21], v[20:21], v[80:81], v[68:69]
                                        ; implicit-def: $vgpr68_vgpr69
	s_waitcnt vmcnt(23)
	v_mul_f64 v[64:65], v[18:19], v[90:91]
	v_fma_f64 v[2:3], v[2:3], v[121:122], -v[58:59]
	v_mul_f64 v[58:59], v[8:9], v[74:75]
	v_fma_f64 v[8:9], v[8:9], v[72:73], v[56:57]
	buffer_store_dword v72, off, s[40:43], 0 offset:8 ; 4-byte Folded Spill
	s_nop 0
	buffer_store_dword v73, off, s[40:43], 0 offset:12 ; 4-byte Folded Spill
	buffer_store_dword v74, off, s[40:43], 0 offset:16 ; 4-byte Folded Spill
	;; [unrolled: 1-line block ×3, first 2 shown]
	v_fma_f64 v[6:7], v[6:7], v[66:67], -v[62:63]
	v_mul_f64 v[62:63], v[12:13], v[78:79]
	v_fma_f64 v[12:13], v[12:13], v[76:77], v[60:61]
	buffer_store_dword v76, off, s[40:43], 0 offset:24 ; 4-byte Folded Spill
	s_nop 0
	buffer_store_dword v77, off, s[40:43], 0 offset:28 ; 4-byte Folded Spill
	buffer_store_dword v78, off, s[40:43], 0 offset:32 ; 4-byte Folded Spill
	;; [unrolled: 1-line block ×3, first 2 shown]
	v_mul_f64 v[66:67], v[16:17], v[90:91]
	v_fma_f64 v[16:17], v[16:17], v[88:89], v[64:65]
	buffer_store_dword v88, off, s[40:43], 0 offset:88 ; 4-byte Folded Spill
	s_nop 0
	buffer_store_dword v89, off, s[40:43], 0 offset:92 ; 4-byte Folded Spill
	buffer_store_dword v90, off, s[40:43], 0 offset:96 ; 4-byte Folded Spill
	;; [unrolled: 1-line block ×4, first 2 shown]
	s_nop 0
	buffer_store_dword v81, off, s[40:43], 0 offset:60 ; 4-byte Folded Spill
	buffer_store_dword v82, off, s[40:43], 0 offset:64 ; 4-byte Folded Spill
	;; [unrolled: 1-line block ×3, first 2 shown]
	ds_write_b128 v230, v[0:3]
	ds_write_b128 v230, v[4:7] offset:8624
	s_waitcnt vmcnt(38)
	v_mul_f64 v[0:1], v[26:27], v[86:87]
	s_waitcnt vmcnt(34)
	v_mul_f64 v[4:5], v[30:31], v[107:108]
	v_mul_f64 v[2:3], v[24:25], v[86:87]
	;; [unrolled: 1-line block ×3, first 2 shown]
	v_fma_f64 v[0:1], v[24:25], v[84:85], v[0:1]
	v_fma_f64 v[4:5], v[28:29], v[105:106], v[4:5]
	s_waitcnt vmcnt(26)
	v_mul_f64 v[24:25], v[50:51], v[111:112]
	s_waitcnt vmcnt(24)
	v_mul_f64 v[28:29], v[54:55], v[119:120]
	v_fma_f64 v[24:25], v[48:49], v[109:110], v[24:25]
	v_fma_f64 v[28:29], v[52:53], v[117:118], v[28:29]
	v_fma_f64 v[10:11], v[10:11], v[72:73], -v[58:59]
	v_fma_f64 v[14:15], v[14:15], v[76:77], -v[62:63]
                                        ; implicit-def: $vgpr76_vgpr77
	v_fma_f64 v[18:19], v[18:19], v[88:89], -v[66:67]
	v_fma_f64 v[22:23], v[22:23], v[80:81], -v[70:71]
	ds_write_b128 v230, v[8:11] offset:1232
	ds_write_b128 v230, v[12:15] offset:9856
	;; [unrolled: 1-line block ×4, first 2 shown]
	buffer_store_dword v84, off, s[40:43], 0 offset:72 ; 4-byte Folded Spill
	s_nop 0
	buffer_store_dword v85, off, s[40:43], 0 offset:76 ; 4-byte Folded Spill
	buffer_store_dword v86, off, s[40:43], 0 offset:80 ; 4-byte Folded Spill
	;; [unrolled: 1-line block ×4, first 2 shown]
	s_nop 0
	buffer_store_dword v106, off, s[40:43], 0 offset:156 ; 4-byte Folded Spill
	buffer_store_dword v107, off, s[40:43], 0 offset:160 ; 4-byte Folded Spill
	;; [unrolled: 1-line block ×3, first 2 shown]
	v_mul_f64 v[8:9], v[34:35], v[115:116]
	v_mul_f64 v[12:13], v[38:39], v[94:95]
	;; [unrolled: 1-line block ×8, first 2 shown]
	v_fma_f64 v[8:9], v[32:33], v[113:114], v[8:9]
	buffer_store_dword v113, off, s[40:43], 0 offset:184 ; 4-byte Folded Spill
	s_nop 0
	buffer_store_dword v114, off, s[40:43], 0 offset:188 ; 4-byte Folded Spill
	buffer_store_dword v115, off, s[40:43], 0 offset:192 ; 4-byte Folded Spill
	buffer_store_dword v116, off, s[40:43], 0 offset:196 ; 4-byte Folded Spill
	v_fma_f64 v[12:13], v[36:37], v[92:93], v[12:13]
	buffer_store_dword v92, off, s[40:43], 0 offset:104 ; 4-byte Folded Spill
	s_nop 0
	buffer_store_dword v93, off, s[40:43], 0 offset:108 ; 4-byte Folded Spill
	buffer_store_dword v94, off, s[40:43], 0 offset:112 ; 4-byte Folded Spill
	buffer_store_dword v95, off, s[40:43], 0 offset:116 ; 4-byte Folded Spill
	;; [unrolled: 6-line block ×4, first 2 shown]
                                        ; implicit-def: $vgpr80_vgpr81
                                        ; implicit-def: $vgpr88_vgpr89
	v_fma_f64 v[2:3], v[26:27], v[84:85], -v[2:3]
	v_mul_f64 v[26:27], v[48:49], v[111:112]
	buffer_store_dword v109, off, s[40:43], 0 offset:168 ; 4-byte Folded Spill
	s_nop 0
	buffer_store_dword v110, off, s[40:43], 0 offset:172 ; 4-byte Folded Spill
	buffer_store_dword v111, off, s[40:43], 0 offset:176 ; 4-byte Folded Spill
	;; [unrolled: 1-line block ×3, first 2 shown]
	v_fma_f64 v[6:7], v[30:31], v[105:106], -v[6:7]
	v_mul_f64 v[30:31], v[52:53], v[119:120]
	buffer_store_dword v117, off, s[40:43], 0 offset:200 ; 4-byte Folded Spill
	s_nop 0
	buffer_store_dword v118, off, s[40:43], 0 offset:204 ; 4-byte Folded Spill
	buffer_store_dword v119, off, s[40:43], 0 offset:208 ; 4-byte Folded Spill
	;; [unrolled: 1-line block ×3, first 2 shown]
	v_fma_f64 v[10:11], v[34:35], v[113:114], -v[10:11]
	v_fma_f64 v[14:15], v[38:39], v[92:93], -v[14:15]
	;; [unrolled: 1-line block ×6, first 2 shown]
	ds_write_b128 v230, v[0:3] offset:3696
	ds_write_b128 v230, v[4:7] offset:12320
	;; [unrolled: 1-line block ×8, first 2 shown]
	s_waitcnt vmcnt(0) lgkmcnt(0)
	s_barrier
	ds_read_b128 v[0:3], v230 offset:8624
	ds_read_b128 v[4:7], v230
	ds_read_b128 v[8:11], v230 offset:1232
	ds_read_b128 v[12:15], v230 offset:9856
	ds_read_b128 v[16:19], v230 offset:11088
	ds_read_b128 v[20:23], v230 offset:2464
	ds_read_b128 v[24:27], v230 offset:3696
	ds_read_b128 v[28:31], v230 offset:12320
	ds_read_b128 v[32:35], v230 offset:13552
	ds_read_b128 v[36:39], v230 offset:4928
	ds_read_b128 v[40:43], v230 offset:6160
	ds_read_b128 v[44:47], v230 offset:7392
	s_waitcnt lgkmcnt(10)
	v_add_f64 v[0:1], v[4:5], -v[0:1]
	v_add_f64 v[2:3], v[6:7], -v[2:3]
	s_waitcnt lgkmcnt(8)
	v_add_f64 v[12:13], v[8:9], -v[12:13]
	v_add_f64 v[14:15], v[10:11], -v[14:15]
	;; [unrolled: 3-line block ×3, first 2 shown]
	ds_read_b128 v[48:51], v230 offset:14784
	ds_read_b128 v[52:55], v230 offset:16016
	s_waitcnt lgkmcnt(6)
	v_add_f64 v[28:29], v[24:25], -v[28:29]
	v_add_f64 v[30:31], v[26:27], -v[30:31]
	s_waitcnt lgkmcnt(4)
	v_add_f64 v[32:33], v[36:37], -v[32:33]
	v_add_f64 v[34:35], v[38:39], -v[34:35]
	s_waitcnt lgkmcnt(1)
	v_add_f64 v[136:137], v[40:41], -v[48:49]
	v_add_f64 v[138:139], v[42:43], -v[50:51]
	v_fma_f64 v[56:57], v[4:5], 2.0, -v[0:1]
	v_fma_f64 v[58:59], v[6:7], 2.0, -v[2:3]
	;; [unrolled: 1-line block ×6, first 2 shown]
	s_waitcnt lgkmcnt(0)
	v_add_f64 v[4:5], v[44:45], -v[52:53]
	v_add_f64 v[6:7], v[46:47], -v[54:55]
	v_fma_f64 v[24:25], v[24:25], 2.0, -v[28:29]
	v_fma_f64 v[26:27], v[26:27], 2.0, -v[30:31]
	;; [unrolled: 1-line block ×4, first 2 shown]
	v_lshlrev_b16_e32 v36, 1, v96
	v_fma_f64 v[37:38], v[40:41], 2.0, -v[136:137]
	v_fma_f64 v[39:40], v[42:43], 2.0, -v[138:139]
	v_lshl_add_u32 v36, v36, 4, v125
	s_barrier
	ds_write_b128 v36, v[56:59]
	buffer_store_dword v36, off, s[40:43], 0 offset:232 ; 4-byte Folded Spill
	ds_write_b128 v36, v[0:3] offset:16
	v_lshl_add_u32 v0, v229, 5, v125
	v_lshl_add_u32 v36, v96, 5, v125
	v_fma_f64 v[8:9], v[44:45], 2.0, -v[4:5]
	v_fma_f64 v[10:11], v[46:47], 2.0, -v[6:7]
	ds_write_b128 v0, v[60:63]
	buffer_store_dword v0, off, s[40:43], 0 offset:236 ; 4-byte Folded Spill
	ds_write_b128 v0, v[12:15] offset:16
	buffer_store_dword v125, off, s[40:43], 0 offset:4 ; 4-byte Folded Spill
	ds_write_b128 v36, v[20:23] offset:4928
	ds_write_b128 v36, v[16:19] offset:4944
	;; [unrolled: 1-line block ×10, first 2 shown]
	s_waitcnt vmcnt(0) lgkmcnt(0)
	s_barrier
	ds_read_b128 v[0:3], v230
	ds_read_b128 v[32:35], v230 offset:1568
	ds_read_b128 v[28:31], v230 offset:3136
	;; [unrolled: 1-line block ×10, first 2 shown]
	buffer_store_dword v96, off, s[40:43], 0 ; 4-byte Folded Spill
                                        ; implicit-def: $vgpr20_vgpr21
                                        ; implicit-def: $vgpr12_vgpr13
                                        ; implicit-def: $vgpr16_vgpr17
	s_and_saveexec_b64 s[0:1], vcc
	s_cbranch_execz .LBB0_3
; %bb.2:
	ds_read_b128 v[136:139], v230 offset:1232
	ds_read_b128 v[8:11], v230 offset:2800
	;; [unrolled: 1-line block ×11, first 2 shown]
.LBB0_3:
	s_or_b64 exec, exec, s[0:1]
	buffer_load_dword v231, off, s[40:43], 0 ; 4-byte Folded Reload
	v_add_u32_e32 v37, 0x1340, v36
	buffer_store_dword v37, off, s[40:43], 0 offset:256 ; 4-byte Folded Spill
	v_add_u32_e32 v37, 0x1ce0, v36
	buffer_store_dword v37, off, s[40:43], 0 offset:252 ; 4-byte Folded Spill
	;; [unrolled: 2-line block ×3, first 2 shown]
	v_add_u32_e32 v37, 0x3020, v36
	v_add_u32_e32 v36, 0x39c0, v36
	buffer_store_dword v36, off, s[40:43], 0 offset:240 ; 4-byte Folded Spill
	buffer_store_dword v37, off, s[40:43], 0 offset:244 ; 4-byte Folded Spill
	s_mov_b32 s24, 0xf8bb580b
	s_mov_b32 s28, 0x8eee2c13
	;; [unrolled: 1-line block ×28, first 2 shown]
	s_waitcnt vmcnt(5)
	v_and_b32_e32 v36, 1, v231
	buffer_store_dword v36, off, s[40:43], 0 offset:260 ; 4-byte Folded Spill
	v_mul_u32_u24_e32 v36, 10, v36
	v_lshlrev_b32_e32 v38, 4, v36
	global_load_dwordx4 v[96:99], v38, s[10:11] offset:48
	global_load_dwordx4 v[100:103], v38, s[10:11] offset:32
	;; [unrolled: 1-line block ×3, first 2 shown]
	global_load_dwordx4 v[120:123], v38, s[10:11]
	s_waitcnt vmcnt(0) lgkmcnt(9)
	v_mul_f64 v[36:37], v[34:35], v[122:123]
	v_fma_f64 v[170:171], v[32:33], v[120:121], -v[36:37]
	v_mul_f64 v[32:33], v[32:33], v[122:123]
	v_fma_f64 v[172:173], v[34:35], v[120:121], v[32:33]
	s_waitcnt lgkmcnt(8)
	v_mul_f64 v[32:33], v[30:31], v[106:107]
	v_fma_f64 v[168:169], v[28:29], v[104:105], -v[32:33]
	v_mul_f64 v[28:29], v[28:29], v[106:107]
	v_fma_f64 v[166:167], v[30:31], v[104:105], v[28:29]
	s_waitcnt lgkmcnt(7)
	;; [unrolled: 5-line block ×3, first 2 shown]
	v_mul_f64 v[24:25], v[110:111], v[98:99]
	v_fma_f64 v[154:155], v[108:109], v[96:97], -v[24:25]
	v_mul_f64 v[24:25], v[108:109], v[98:99]
	v_fma_f64 v[152:153], v[110:111], v[96:97], v[24:25]
	global_load_dwordx4 v[108:111], v38, s[10:11] offset:112
	global_load_dwordx4 v[112:115], v38, s[10:11] offset:96
	;; [unrolled: 1-line block ×6, first 2 shown]
	s_waitcnt vmcnt(2) lgkmcnt(5)
	v_mul_f64 v[24:25], v[94:95], v[130:131]
	v_fma_f64 v[148:149], v[92:93], v[128:129], -v[24:25]
	v_mul_f64 v[24:25], v[92:93], v[130:131]
	v_fma_f64 v[144:145], v[94:95], v[128:129], v[24:25]
	s_waitcnt lgkmcnt(4)
	v_mul_f64 v[24:25], v[86:87], v[118:119]
	v_fma_f64 v[150:151], v[84:85], v[116:117], -v[24:25]
	v_mul_f64 v[24:25], v[84:85], v[118:119]
	v_fma_f64 v[146:147], v[86:87], v[116:117], v[24:25]
	s_waitcnt lgkmcnt(3)
	;; [unrolled: 5-line block ×3, first 2 shown]
	v_mul_f64 v[24:25], v[66:67], v[110:111]
	v_fma_f64 v[164:165], v[64:65], v[108:109], -v[24:25]
	v_mul_f64 v[24:25], v[64:65], v[110:111]
	v_fma_f64 v[64:65], v[66:67], v[108:109], v[24:25]
	s_waitcnt vmcnt(0) lgkmcnt(1)
	v_mul_f64 v[24:25], v[62:63], v[134:135]
	v_fma_f64 v[66:67], v[60:61], v[132:133], -v[24:25]
	v_mul_f64 v[24:25], v[60:61], v[134:135]
	v_fma_f64 v[60:61], v[62:63], v[132:133], v[24:25]
	s_waitcnt lgkmcnt(0)
	v_mul_f64 v[24:25], v[58:59], v[126:127]
	v_fma_f64 v[62:63], v[56:57], v[124:125], -v[24:25]
	v_mul_f64 v[24:25], v[56:57], v[126:127]
	v_fma_f64 v[72:73], v[58:59], v[124:125], v[24:25]
	v_and_b32_e32 v24, 1, v229
	buffer_store_dword v24, off, s[40:43], 0 offset:264 ; 4-byte Folded Spill
	v_mul_u32_u24_e32 v24, 10, v24
	v_lshlrev_b32_e32 v26, 4, v24
	global_load_dwordx4 v[48:51], v26, s[10:11] offset:48
	global_load_dwordx4 v[44:47], v26, s[10:11] offset:32
	;; [unrolled: 1-line block ×3, first 2 shown]
	global_load_dwordx4 v[27:30], v26, s[10:11]
	s_waitcnt vmcnt(0)
	v_mul_f64 v[24:25], v[10:11], v[29:30]
	v_fma_f64 v[36:37], v[8:9], v[27:28], -v[24:25]
	v_mul_f64 v[8:9], v[8:9], v[29:30]
	buffer_store_dword v27, off, s[40:43], 0 offset:268 ; 4-byte Folded Spill
	s_nop 0
	buffer_store_dword v28, off, s[40:43], 0 offset:272 ; 4-byte Folded Spill
	buffer_store_dword v29, off, s[40:43], 0 offset:276 ; 4-byte Folded Spill
	buffer_store_dword v30, off, s[40:43], 0 offset:280 ; 4-byte Folded Spill
	v_fma_f64 v[38:39], v[10:11], v[27:28], v[8:9]
	v_mul_f64 v[8:9], v[6:7], v[42:43]
	v_fma_f64 v[32:33], v[4:5], v[40:41], -v[8:9]
	v_mul_f64 v[4:5], v[4:5], v[42:43]
	buffer_store_dword v40, off, s[40:43], 0 offset:284 ; 4-byte Folded Spill
	s_nop 0
	buffer_store_dword v41, off, s[40:43], 0 offset:288 ; 4-byte Folded Spill
	buffer_store_dword v42, off, s[40:43], 0 offset:292 ; 4-byte Folded Spill
	buffer_store_dword v43, off, s[40:43], 0 offset:296 ; 4-byte Folded Spill
	v_fma_f64 v[34:35], v[6:7], v[40:41], v[4:5]
	;; [unrolled: 9-line block ×3, first 2 shown]
	v_mul_f64 v[4:5], v[82:83], v[50:51]
	v_fma_f64 v[84:85], v[80:81], v[48:49], -v[4:5]
	v_mul_f64 v[4:5], v[80:81], v[50:51]
	buffer_store_dword v48, off, s[40:43], 0 offset:332 ; 4-byte Folded Spill
	s_nop 0
	buffer_store_dword v49, off, s[40:43], 0 offset:336 ; 4-byte Folded Spill
	buffer_store_dword v50, off, s[40:43], 0 offset:340 ; 4-byte Folded Spill
	;; [unrolled: 1-line block ×3, first 2 shown]
	global_load_dwordx4 v[6:9], v26, s[10:11] offset:112
	global_load_dwordx4 v[27:30], v26, s[10:11] offset:96
	;; [unrolled: 1-line block ×4, first 2 shown]
	v_fma_f64 v[86:87], v[82:83], v[48:49], v[4:5]
	s_waitcnt vmcnt(0)
	v_mul_f64 v[4:5], v[22:23], v[94:95]
	v_fma_f64 v[48:49], v[20:21], v[92:93], -v[4:5]
	v_mul_f64 v[4:5], v[20:21], v[94:95]
	v_fma_f64 v[50:51], v[22:23], v[92:93], v[4:5]
	v_mul_f64 v[4:5], v[70:71], v[42:43]
	v_fma_f64 v[44:45], v[68:69], v[40:41], -v[4:5]
	v_mul_f64 v[4:5], v[68:69], v[42:43]
	buffer_store_dword v40, off, s[40:43], 0 offset:380 ; 4-byte Folded Spill
	s_nop 0
	buffer_store_dword v41, off, s[40:43], 0 offset:384 ; 4-byte Folded Spill
	buffer_store_dword v42, off, s[40:43], 0 offset:388 ; 4-byte Folded Spill
	;; [unrolled: 1-line block ×3, first 2 shown]
	v_fma_f64 v[46:47], v[70:71], v[40:41], v[4:5]
	v_mul_f64 v[4:5], v[90:91], v[29:30]
	v_fma_f64 v[40:41], v[88:89], v[27:28], -v[4:5]
	v_mul_f64 v[4:5], v[88:89], v[29:30]
	buffer_store_dword v27, off, s[40:43], 0 offset:364 ; 4-byte Folded Spill
	s_nop 0
	buffer_store_dword v28, off, s[40:43], 0 offset:368 ; 4-byte Folded Spill
	buffer_store_dword v29, off, s[40:43], 0 offset:372 ; 4-byte Folded Spill
	;; [unrolled: 1-line block ×3, first 2 shown]
	v_mov_b32_e32 v88, v210
	v_mov_b32_e32 v89, v211
	v_add_f64 v[220:221], v[84:85], -v[40:41]
	v_fma_f64 v[42:43], v[90:91], v[27:28], v[4:5]
	v_mul_f64 v[4:5], v[142:143], v[8:9]
	v_mov_b32_e32 v91, v11
	v_mov_b32_e32 v90, v10
	v_add_f64 v[222:223], v[86:87], -v[42:43]
	v_fma_f64 v[20:21], v[140:141], v[6:7], -v[4:5]
	v_mul_f64 v[4:5], v[140:141], v[8:9]
	buffer_store_dword v6, off, s[40:43], 0 offset:348 ; 4-byte Folded Spill
	s_nop 0
	buffer_store_dword v7, off, s[40:43], 0 offset:352 ; 4-byte Folded Spill
	buffer_store_dword v8, off, s[40:43], 0 offset:356 ; 4-byte Folded Spill
	;; [unrolled: 1-line block ×3, first 2 shown]
	v_add_f64 v[208:209], v[90:91], -v[20:21]
	v_fma_f64 v[22:23], v[142:143], v[6:7], v[4:5]
	global_load_dwordx4 v[6:9], v26, s[10:11] offset:144
	s_nop 0
	global_load_dwordx4 v[24:27], v26, s[10:11] offset:128
	s_waitcnt vmcnt(0)
	v_mul_f64 v[4:5], v[14:15], v[26:27]
	v_fma_f64 v[54:55], v[12:13], v[24:25], -v[4:5]
	v_mul_f64 v[4:5], v[12:13], v[26:27]
	buffer_store_dword v24, off, s[40:43], 0 offset:396 ; 4-byte Folded Spill
	s_nop 0
	buffer_store_dword v25, off, s[40:43], 0 offset:400 ; 4-byte Folded Spill
	buffer_store_dword v26, off, s[40:43], 0 offset:404 ; 4-byte Folded Spill
	;; [unrolled: 1-line block ×3, first 2 shown]
	v_add_f64 v[12:13], v[170:171], -v[62:63]
	v_add_f64 v[196:197], v[32:33], -v[54:55]
	v_mul_f64 v[74:75], v[12:13], s[28:29]
	v_mul_f64 v[82:83], v[12:13], s[18:19]
	;; [unrolled: 1-line block ×4, first 2 shown]
	v_fma_f64 v[58:59], v[14:15], v[24:25], v[4:5]
	v_mul_f64 v[4:5], v[18:19], v[8:9]
	v_add_f64 v[14:15], v[172:173], -v[72:73]
	v_add_f64 v[198:199], v[34:35], -v[58:59]
	v_fma_f64 v[52:53], v[16:17], v[6:7], -v[4:5]
	v_mul_f64 v[4:5], v[16:17], v[8:9]
	buffer_store_dword v6, off, s[40:43], 0 offset:316 ; 4-byte Folded Spill
	s_nop 0
	buffer_store_dword v7, off, s[40:43], 0 offset:320 ; 4-byte Folded Spill
	buffer_store_dword v8, off, s[40:43], 0 offset:324 ; 4-byte Folded Spill
	;; [unrolled: 1-line block ×3, first 2 shown]
	v_mul_f64 v[16:17], v[14:15], s[24:25]
	v_mul_f64 v[70:71], v[14:15], s[28:29]
	;; [unrolled: 1-line block ×6, first 2 shown]
	v_add_f64 v[182:183], v[34:35], v[58:59]
	s_waitcnt vmcnt(0)
	s_barrier
	v_fma_f64 v[56:57], v[18:19], v[6:7], v[4:5]
	v_add_f64 v[4:5], v[0:1], v[170:171]
	v_add_f64 v[6:7], v[2:3], v[172:173]
	;; [unrolled: 1-line block ×22, first 2 shown]
	v_mul_f64 v[62:63], v[12:13], s[24:25]
	v_mul_f64 v[172:173], v[12:13], s[22:23]
	;; [unrolled: 1-line block ×3, first 2 shown]
	v_fma_f64 v[18:19], v[6:7], s[0:1], -v[16:17]
	v_fma_f64 v[16:17], v[6:7], s[0:1], v[16:17]
	v_fma_f64 v[68:69], v[4:5], s[0:1], v[62:63]
	v_fma_f64 v[62:63], v[4:5], s[0:1], -v[62:63]
	v_fma_f64 v[72:73], v[6:7], s[2:3], -v[70:71]
	v_fma_f64 v[76:77], v[4:5], s[2:3], v[74:75]
	v_fma_f64 v[70:71], v[6:7], s[2:3], v[70:71]
	v_fma_f64 v[74:75], v[4:5], s[2:3], -v[74:75]
	;; [unrolled: 4-line block ×5, first 2 shown]
	v_add_f64 v[14:15], v[166:167], -v[60:61]
	v_add_f64 v[18:19], v[0:1], v[18:19]
	v_add_f64 v[68:69], v[2:3], v[68:69]
	;; [unrolled: 1-line block ×22, first 2 shown]
	v_mul_f64 v[60:61], v[14:15], s[28:29]
	v_add_f64 v[12:13], v[168:169], -v[66:67]
	v_fma_f64 v[66:67], v[4:5], s[2:3], -v[60:61]
	v_fma_f64 v[60:61], v[4:5], s[2:3], v[60:61]
	v_add_f64 v[18:19], v[66:67], v[18:19]
	v_mul_f64 v[66:67], v[12:13], s[28:29]
	v_add_f64 v[16:17], v[60:61], v[16:17]
	v_fma_f64 v[60:61], v[6:7], s[2:3], -v[66:67]
	v_fma_f64 v[166:167], v[6:7], s[2:3], v[66:67]
	v_add_f64 v[60:61], v[60:61], v[62:63]
	v_mul_f64 v[62:63], v[14:15], s[22:23]
	v_add_f64 v[68:69], v[166:167], v[68:69]
	;; [unrolled: 5-line block ×3, first 2 shown]
	v_fma_f64 v[166:167], v[6:7], s[16:17], v[72:73]
	v_fma_f64 v[70:71], v[6:7], s[16:17], -v[72:73]
	v_mul_f64 v[72:73], v[14:15], s[38:39]
	v_add_f64 v[76:77], v[166:167], v[76:77]
	v_add_f64 v[70:71], v[70:71], v[74:75]
	v_fma_f64 v[74:75], v[4:5], s[20:21], -v[72:73]
	v_fma_f64 v[72:73], v[4:5], s[20:21], v[72:73]
	v_add_f64 v[74:75], v[74:75], v[80:81]
	v_mul_f64 v[80:81], v[12:13], s[38:39]
	v_add_f64 v[72:73], v[72:73], v[78:79]
	v_fma_f64 v[166:167], v[6:7], s[20:21], v[80:81]
	v_fma_f64 v[78:79], v[6:7], s[20:21], -v[80:81]
	v_mul_f64 v[80:81], v[14:15], s[36:37]
	v_mul_f64 v[14:15], v[14:15], s[34:35]
	v_add_f64 v[140:141], v[166:167], v[140:141]
	v_add_f64 v[78:79], v[78:79], v[82:83]
	v_fma_f64 v[82:83], v[4:5], s[14:15], -v[80:81]
	v_mul_f64 v[166:167], v[12:13], s[36:37]
	v_fma_f64 v[80:81], v[4:5], s[14:15], v[80:81]
	v_mul_f64 v[12:13], v[12:13], s[34:35]
	v_add_f64 v[82:83], v[82:83], v[170:171]
	v_fma_f64 v[168:169], v[6:7], s[14:15], v[166:167]
	v_add_f64 v[80:81], v[80:81], v[142:143]
	v_fma_f64 v[142:143], v[6:7], s[14:15], -v[166:167]
	v_fma_f64 v[166:167], v[4:5], s[0:1], -v[14:15]
	v_fma_f64 v[4:5], v[4:5], s[0:1], v[14:15]
	v_add_f64 v[14:15], v[160:161], -v[64:65]
	v_fma_f64 v[170:171], v[6:7], s[0:1], v[12:13]
	v_add_f64 v[168:169], v[168:169], v[174:175]
	v_add_f64 v[142:143], v[142:143], v[172:173]
	;; [unrolled: 1-line block ×4, first 2 shown]
	v_fma_f64 v[4:5], v[6:7], s[0:1], -v[12:13]
	v_add_f64 v[6:7], v[160:161], v[64:65]
	v_mul_f64 v[64:65], v[14:15], s[18:19]
	v_add_f64 v[12:13], v[162:163], -v[164:165]
	v_add_f64 v[170:171], v[170:171], v[178:179]
	v_add_f64 v[176:177], v[36:37], v[52:53]
	v_add_f64 v[178:179], v[38:39], v[56:57]
	v_add_f64 v[2:3], v[4:5], v[2:3]
	v_add_f64 v[4:5], v[162:163], v[164:165]
	v_fma_f64 v[160:161], v[4:5], s[14:15], -v[64:65]
	v_fma_f64 v[64:65], v[4:5], s[14:15], v[64:65]
	v_add_f64 v[18:19], v[160:161], v[18:19]
	v_mul_f64 v[160:161], v[12:13], s[18:19]
	v_add_f64 v[16:17], v[64:65], v[16:17]
	v_fma_f64 v[64:65], v[6:7], s[14:15], -v[160:161]
	v_fma_f64 v[162:163], v[6:7], s[14:15], v[160:161]
	v_add_f64 v[60:61], v[64:65], v[60:61]
	v_mul_f64 v[64:65], v[14:15], s[38:39]
	v_add_f64 v[68:69], v[162:163], v[68:69]
	;; [unrolled: 5-line block ×5, first 2 shown]
	v_fma_f64 v[72:73], v[6:7], s[2:3], -v[160:161]
	v_fma_f64 v[162:163], v[6:7], s[2:3], v[160:161]
	v_add_f64 v[72:73], v[72:73], v[78:79]
	v_mul_f64 v[78:79], v[14:15], s[24:25]
	v_mul_f64 v[14:15], v[14:15], s[22:23]
	v_add_f64 v[140:141], v[162:163], v[140:141]
	v_fma_f64 v[160:161], v[4:5], s[0:1], -v[78:79]
	v_fma_f64 v[78:79], v[4:5], s[0:1], v[78:79]
	v_add_f64 v[82:83], v[160:161], v[82:83]
	v_mul_f64 v[160:161], v[12:13], s[24:25]
	v_add_f64 v[78:79], v[78:79], v[80:81]
	v_mul_f64 v[12:13], v[12:13], s[22:23]
	v_fma_f64 v[80:81], v[6:7], s[0:1], -v[160:161]
	v_fma_f64 v[162:163], v[6:7], s[0:1], v[160:161]
	v_fma_f64 v[160:161], v[6:7], s[16:17], v[12:13]
	v_add_f64 v[80:81], v[80:81], v[142:143]
	v_fma_f64 v[142:143], v[4:5], s[16:17], -v[14:15]
	v_fma_f64 v[4:5], v[4:5], s[16:17], v[14:15]
	v_add_f64 v[14:15], v[152:153], -v[156:157]
	v_add_f64 v[162:163], v[162:163], v[168:169]
	v_add_f64 v[168:169], v[144:145], -v[146:147]
	v_add_f64 v[160:161], v[160:161], v[170:171]
	;; [unrolled: 2-line block ×3, first 2 shown]
	v_add_f64 v[0:1], v[4:5], v[0:1]
	v_fma_f64 v[4:5], v[6:7], s[16:17], -v[12:13]
	v_add_f64 v[6:7], v[152:153], v[156:157]
	v_mul_f64 v[152:153], v[14:15], s[22:23]
	v_add_f64 v[12:13], v[154:155], -v[158:159]
	v_add_f64 v[2:3], v[4:5], v[2:3]
	v_add_f64 v[4:5], v[154:155], v[158:159]
	v_fma_f64 v[154:155], v[4:5], s[16:17], -v[152:153]
	v_fma_f64 v[152:153], v[4:5], s[16:17], v[152:153]
	v_add_f64 v[18:19], v[154:155], v[18:19]
	v_mul_f64 v[154:155], v[12:13], s[22:23]
	v_add_f64 v[152:153], v[152:153], v[16:17]
	v_fma_f64 v[16:17], v[6:7], s[16:17], -v[154:155]
	v_fma_f64 v[156:157], v[6:7], s[16:17], v[154:155]
	v_add_f64 v[60:61], v[16:17], v[60:61]
	v_mul_f64 v[16:17], v[14:15], s[36:37]
	;; [unrolled: 5-line block ×6, first 2 shown]
	v_add_f64 v[156:157], v[156:157], v[140:141]
	v_mul_f64 v[14:15], v[14:15], s[30:31]
	v_fma_f64 v[140:141], v[4:5], s[20:21], -v[16:17]
	v_fma_f64 v[16:17], v[4:5], s[20:21], v[16:17]
	v_add_f64 v[82:83], v[140:141], v[82:83]
	v_mul_f64 v[140:141], v[12:13], s[26:27]
	v_add_f64 v[78:79], v[16:17], v[78:79]
	v_mul_f64 v[12:13], v[12:13], s[30:31]
	v_fma_f64 v[16:17], v[6:7], s[20:21], -v[140:141]
	v_fma_f64 v[154:155], v[6:7], s[20:21], v[140:141]
	v_add_f64 v[80:81], v[16:17], v[80:81]
	v_fma_f64 v[16:17], v[4:5], s[2:3], -v[14:15]
	v_fma_f64 v[4:5], v[4:5], s[2:3], v[14:15]
	v_add_f64 v[158:159], v[154:155], v[162:163]
	v_add_f64 v[164:165], v[16:17], v[142:143]
	;; [unrolled: 1-line block ×3, first 2 shown]
	v_fma_f64 v[4:5], v[6:7], s[2:3], -v[12:13]
	v_fma_f64 v[16:17], v[6:7], s[2:3], v[12:13]
	v_mul_f64 v[12:13], v[168:169], s[26:27]
	v_add_f64 v[6:7], v[144:145], v[146:147]
	v_add_f64 v[2:3], v[4:5], v[2:3]
	;; [unrolled: 1-line block ×4, first 2 shown]
	v_fma_f64 v[14:15], v[4:5], s[20:21], -v[12:13]
	v_fma_f64 v[12:13], v[4:5], s[20:21], v[12:13]
	v_add_f64 v[16:17], v[14:15], v[18:19]
	v_mul_f64 v[14:15], v[170:171], s[26:27]
	v_add_f64 v[12:13], v[12:13], v[152:153]
	v_fma_f64 v[18:19], v[6:7], s[20:21], v[14:15]
	v_fma_f64 v[14:15], v[6:7], s[20:21], -v[14:15]
	v_add_f64 v[18:19], v[18:19], v[68:69]
	v_add_f64 v[14:15], v[14:15], v[60:61]
	v_mul_f64 v[60:61], v[168:169], s[34:35]
	v_fma_f64 v[68:69], v[4:5], s[0:1], -v[60:61]
	v_fma_f64 v[60:61], v[4:5], s[0:1], v[60:61]
	v_add_f64 v[144:145], v[68:69], v[66:67]
	v_mul_f64 v[66:67], v[170:171], s[34:35]
	v_add_f64 v[140:141], v[60:61], v[62:63]
	v_fma_f64 v[60:61], v[6:7], s[0:1], -v[66:67]
	v_fma_f64 v[68:69], v[6:7], s[0:1], v[66:67]
	v_add_f64 v[142:143], v[60:61], v[64:65]
	v_mul_f64 v[60:61], v[168:169], s[22:23]
	v_add_f64 v[146:147], v[68:69], v[76:77]
	;; [unrolled: 5-line block ×7, first 2 shown]
	v_fma_f64 v[64:65], v[6:7], s[14:15], v[62:63]
	v_fma_f64 v[0:1], v[6:7], s[14:15], -v[62:63]
	v_add_f64 v[170:171], v[64:65], v[166:167]
	v_add_f64 v[166:167], v[0:1], v[2:3]
	v_add_f64 v[2:3], v[38:39], -v[56:57]
	v_add_f64 v[0:1], v[36:37], -v[52:53]
	v_mul_f64 v[60:61], v[2:3], s[24:25]
	v_mul_f64 v[172:173], v[2:3], s[28:29]
	;; [unrolled: 1-line block ×10, first 2 shown]
	v_fma_f64 v[4:5], v[176:177], s[0:1], v[60:61]
	v_fma_f64 v[64:65], v[176:177], s[2:3], v[172:173]
	v_fma_f64 v[180:181], v[176:177], s[20:21], -v[2:3]
	v_fma_f64 v[6:7], v[178:179], s[0:1], -v[62:63]
	;; [unrolled: 1-line block ×4, first 2 shown]
	v_fma_f64 v[68:69], v[176:177], s[14:15], v[68:69]
	v_fma_f64 v[74:75], v[178:179], s[14:15], v[72:73]
	v_add_f64 v[4:5], v[136:137], v[4:5]
	v_add_f64 v[64:65], v[136:137], v[64:65]
	;; [unrolled: 1-line block ×3, first 2 shown]
	v_fma_f64 v[180:181], v[178:179], s[20:21], v[0:1]
	v_add_f64 v[6:7], v[138:139], v[6:7]
	v_add_f64 v[66:67], v[138:139], v[66:67]
	;; [unrolled: 1-line block ×4, first 2 shown]
	v_fma_f64 v[72:73], v[178:179], s[14:15], -v[72:73]
	v_fma_f64 v[78:79], v[176:177], s[16:17], -v[76:77]
	v_fma_f64 v[76:77], v[176:177], s[16:17], v[76:77]
	v_add_f64 v[194:195], v[138:139], v[180:181]
	v_add_f64 v[180:181], v[32:33], v[54:55]
	v_fma_f64 v[82:83], v[178:179], s[16:17], v[80:81]
	v_fma_f64 v[80:81], v[178:179], s[16:17], -v[80:81]
	v_add_f64 v[74:75], v[138:139], v[74:75]
	v_add_f64 v[72:73], v[138:139], v[72:73]
	;; [unrolled: 1-line block ×4, first 2 shown]
	v_fma_f64 v[2:3], v[176:177], s[20:21], v[2:3]
	v_fma_f64 v[188:189], v[180:181], s[2:3], v[184:185]
	v_add_f64 v[82:83], v[138:139], v[82:83]
	v_add_f64 v[80:81], v[138:139], v[80:81]
	v_fma_f64 v[0:1], v[178:179], s[20:21], -v[0:1]
	v_add_f64 v[2:3], v[136:137], v[2:3]
	v_add_f64 v[4:5], v[188:189], v[4:5]
	v_fma_f64 v[188:189], v[182:183], s[2:3], -v[186:187]
	v_add_f64 v[0:1], v[138:139], v[0:1]
	v_add_f64 v[6:7], v[188:189], v[6:7]
	v_mul_f64 v[188:189], v[198:199], s[22:23]
	v_fma_f64 v[200:201], v[180:181], s[16:17], v[188:189]
	v_add_f64 v[64:65], v[200:201], v[64:65]
	v_fma_f64 v[200:201], v[182:183], s[16:17], -v[190:191]
	v_add_f64 v[66:67], v[200:201], v[66:67]
	v_mul_f64 v[200:201], v[198:199], s[38:39]
	v_fma_f64 v[202:203], v[180:181], s[20:21], -v[200:201]
	v_fma_f64 v[200:201], v[180:181], s[20:21], v[200:201]
	v_add_f64 v[70:71], v[202:203], v[70:71]
	v_mul_f64 v[202:203], v[196:197], s[38:39]
	v_add_f64 v[68:69], v[200:201], v[68:69]
	v_fma_f64 v[200:201], v[182:183], s[20:21], -v[202:203]
	v_fma_f64 v[204:205], v[182:183], s[20:21], v[202:203]
	v_add_f64 v[72:73], v[200:201], v[72:73]
	v_mul_f64 v[200:201], v[198:199], s[36:37]
	v_mul_f64 v[198:199], v[198:199], s[34:35]
	v_add_f64 v[74:75], v[204:205], v[74:75]
	v_fma_f64 v[202:203], v[180:181], s[14:15], -v[200:201]
	v_fma_f64 v[200:201], v[180:181], s[14:15], v[200:201]
	v_add_f64 v[78:79], v[202:203], v[78:79]
	v_mul_f64 v[202:203], v[196:197], s[36:37]
	v_add_f64 v[76:77], v[200:201], v[76:77]
	v_fma_f64 v[200:201], v[182:183], s[14:15], -v[202:203]
	v_fma_f64 v[204:205], v[182:183], s[14:15], v[202:203]
	v_mul_f64 v[202:203], v[208:209], s[38:39]
	v_add_f64 v[80:81], v[200:201], v[80:81]
	v_fma_f64 v[200:201], v[180:181], s[0:1], -v[198:199]
	v_add_f64 v[82:83], v[204:205], v[82:83]
	v_add_f64 v[204:205], v[200:201], v[192:193]
	v_mul_f64 v[192:193], v[196:197], s[34:35]
	v_fma_f64 v[196:197], v[182:183], s[0:1], v[192:193]
	v_fma_f64 v[192:193], v[182:183], s[0:1], -v[192:193]
	v_add_f64 v[206:207], v[196:197], v[194:195]
	v_fma_f64 v[194:195], v[180:181], s[0:1], v[198:199]
	v_add_f64 v[0:1], v[192:193], v[0:1]
	v_add_f64 v[192:193], v[90:91], v[20:21]
	v_mul_f64 v[198:199], v[208:209], s[18:19]
	v_add_f64 v[2:3], v[194:195], v[2:3]
	v_add_f64 v[194:195], v[210:211], v[22:23]
	v_add_f64 v[210:211], v[210:211], -v[22:23]
	v_mul_f64 v[196:197], v[210:211], s[18:19]
	v_fma_f64 v[200:201], v[192:193], s[14:15], v[196:197]
	v_add_f64 v[4:5], v[200:201], v[4:5]
	v_fma_f64 v[200:201], v[194:195], s[14:15], -v[198:199]
	v_add_f64 v[6:7], v[200:201], v[6:7]
	v_mul_f64 v[200:201], v[210:211], s[38:39]
	v_fma_f64 v[212:213], v[192:193], s[20:21], v[200:201]
	v_add_f64 v[64:65], v[212:213], v[64:65]
	v_fma_f64 v[212:213], v[194:195], s[20:21], -v[202:203]
	v_add_f64 v[66:67], v[212:213], v[66:67]
	v_mul_f64 v[212:213], v[210:211], s[30:31]
	v_fma_f64 v[214:215], v[192:193], s[2:3], -v[212:213]
	v_fma_f64 v[212:213], v[192:193], s[2:3], v[212:213]
	v_add_f64 v[70:71], v[214:215], v[70:71]
	v_mul_f64 v[214:215], v[208:209], s[30:31]
	v_add_f64 v[68:69], v[212:213], v[68:69]
	v_fma_f64 v[212:213], v[194:195], s[2:3], -v[214:215]
	v_fma_f64 v[216:217], v[194:195], s[2:3], v[214:215]
	v_add_f64 v[72:73], v[212:213], v[72:73]
	v_mul_f64 v[212:213], v[210:211], s[24:25]
	v_mul_f64 v[210:211], v[210:211], s[22:23]
	v_add_f64 v[74:75], v[216:217], v[74:75]
	v_fma_f64 v[214:215], v[192:193], s[0:1], -v[212:213]
	v_fma_f64 v[212:213], v[192:193], s[0:1], v[212:213]
	v_add_f64 v[78:79], v[214:215], v[78:79]
	v_mul_f64 v[214:215], v[208:209], s[24:25]
	v_add_f64 v[76:77], v[212:213], v[76:77]
	v_fma_f64 v[212:213], v[194:195], s[0:1], -v[214:215]
	v_fma_f64 v[216:217], v[194:195], s[0:1], v[214:215]
	v_mul_f64 v[214:215], v[220:221], s[36:37]
	v_add_f64 v[80:81], v[212:213], v[80:81]
	v_fma_f64 v[212:213], v[192:193], s[16:17], -v[210:211]
	v_add_f64 v[82:83], v[216:217], v[82:83]
	v_add_f64 v[216:217], v[212:213], v[204:205]
	v_mul_f64 v[204:205], v[208:209], s[22:23]
	v_fma_f64 v[208:209], v[194:195], s[16:17], v[204:205]
	v_fma_f64 v[204:205], v[194:195], s[16:17], -v[204:205]
	v_add_f64 v[218:219], v[208:209], v[206:207]
	v_fma_f64 v[206:207], v[192:193], s[16:17], v[210:211]
	v_add_f64 v[0:1], v[204:205], v[0:1]
	v_add_f64 v[204:205], v[84:85], v[40:41]
	v_mul_f64 v[208:209], v[222:223], s[22:23]
	v_mul_f64 v[210:211], v[220:221], s[22:23]
	v_add_f64 v[2:3], v[206:207], v[2:3]
	v_add_f64 v[206:207], v[86:87], v[42:43]
	v_fma_f64 v[212:213], v[204:205], s[16:17], v[208:209]
	v_add_f64 v[4:5], v[212:213], v[4:5]
	v_fma_f64 v[212:213], v[206:207], s[16:17], -v[210:211]
	v_add_f64 v[6:7], v[212:213], v[6:7]
	v_mul_f64 v[212:213], v[222:223], s[36:37]
	v_fma_f64 v[224:225], v[204:205], s[14:15], v[212:213]
	v_add_f64 v[232:233], v[224:225], v[64:65]
	v_fma_f64 v[64:65], v[206:207], s[14:15], -v[214:215]
	v_add_f64 v[234:235], v[64:65], v[66:67]
	v_mul_f64 v[64:65], v[222:223], s[24:25]
	v_fma_f64 v[66:67], v[204:205], s[0:1], -v[64:65]
	v_fma_f64 v[64:65], v[204:205], s[0:1], v[64:65]
	v_add_f64 v[70:71], v[66:67], v[70:71]
	v_mul_f64 v[66:67], v[220:221], s[24:25]
	v_add_f64 v[68:69], v[64:65], v[68:69]
	v_fma_f64 v[64:65], v[206:207], s[0:1], -v[66:67]
	v_fma_f64 v[224:225], v[206:207], s[0:1], v[66:67]
	v_add_f64 v[72:73], v[64:65], v[72:73]
	v_mul_f64 v[64:65], v[222:223], s[26:27]
	v_add_f64 v[74:75], v[224:225], v[74:75]
	v_fma_f64 v[66:67], v[204:205], s[20:21], -v[64:65]
	v_fma_f64 v[64:65], v[204:205], s[20:21], v[64:65]
	v_add_f64 v[78:79], v[66:67], v[78:79]
	v_mul_f64 v[66:67], v[220:221], s[26:27]
	v_add_f64 v[76:77], v[64:65], v[76:77]
	v_fma_f64 v[64:65], v[206:207], s[20:21], -v[66:67]
	v_fma_f64 v[224:225], v[206:207], s[20:21], v[66:67]
	v_add_f64 v[80:81], v[64:65], v[80:81]
	v_mul_f64 v[64:65], v[222:223], s[30:31]
	v_add_f64 v[82:83], v[224:225], v[82:83]
	v_fma_f64 v[66:67], v[204:205], s[2:3], -v[64:65]
	v_fma_f64 v[64:65], v[204:205], s[2:3], v[64:65]
	v_add_f64 v[24:25], v[66:67], v[216:217]
	v_mul_f64 v[66:67], v[220:221], s[30:31]
	v_add_f64 v[28:29], v[64:65], v[2:3]
	v_fma_f64 v[2:3], v[206:207], s[2:3], -v[66:67]
	v_fma_f64 v[216:217], v[206:207], s[2:3], v[66:67]
	v_add_f64 v[30:31], v[2:3], v[0:1]
	v_add_f64 v[0:1], v[50:51], -v[46:47]
	v_add_f64 v[26:27], v[216:217], v[218:219]
	v_add_f64 v[216:217], v[48:49], v[44:45]
	v_add_f64 v[2:3], v[48:49], -v[44:45]
	v_add_f64 v[218:219], v[50:51], v[46:47]
	v_mul_f64 v[220:221], v[0:1], s[26:27]
	v_mul_f64 v[224:225], v[0:1], s[34:35]
	;; [unrolled: 1-line block ×4, first 2 shown]
	v_fma_f64 v[64:65], v[216:217], s[20:21], v[220:221]
	v_add_f64 v[64:65], v[64:65], v[4:5]
	v_fma_f64 v[4:5], v[218:219], s[20:21], -v[222:223]
	v_add_f64 v[66:67], v[4:5], v[6:7]
	v_fma_f64 v[4:5], v[216:217], s[0:1], v[224:225]
	v_add_f64 v[236:237], v[4:5], v[232:233]
	v_fma_f64 v[4:5], v[218:219], s[0:1], -v[226:227]
	v_add_f64 v[238:239], v[4:5], v[234:235]
	v_mul_f64 v[4:5], v[0:1], s[22:23]
	v_fma_f64 v[6:7], v[216:217], s[16:17], -v[4:5]
	v_fma_f64 v[4:5], v[216:217], s[16:17], v[4:5]
	v_add_f64 v[240:241], v[6:7], v[70:71]
	v_mul_f64 v[6:7], v[2:3], s[22:23]
	v_add_f64 v[244:245], v[4:5], v[68:69]
	v_fma_f64 v[4:5], v[218:219], s[16:17], -v[6:7]
	v_fma_f64 v[70:71], v[218:219], s[16:17], v[6:7]
	v_add_f64 v[246:247], v[4:5], v[72:73]
	v_mul_f64 v[4:5], v[0:1], s[30:31]
	v_add_f64 v[242:243], v[70:71], v[74:75]
	;; [unrolled: 5-line block ×3, first 2 shown]
	v_fma_f64 v[4:5], v[218:219], s[2:3], -v[6:7]
	v_fma_f64 v[68:69], v[218:219], s[2:3], v[6:7]
	v_mul_f64 v[6:7], v[2:3], s[18:19]
	v_add_f64 v[254:255], v[4:5], v[80:81]
	v_mul_f64 v[4:5], v[0:1], s[18:19]
	v_add_f64 v[250:251], v[68:69], v[82:83]
	buffer_load_dword v83, off, s[40:43], 0 offset:4 ; 4-byte Folded Reload
	v_fma_f64 v[2:3], v[218:219], s[14:15], v[6:7]
	v_fma_f64 v[6:7], v[218:219], s[14:15], -v[6:7]
	v_fma_f64 v[0:1], v[216:217], s[14:15], -v[4:5]
	v_fma_f64 v[4:5], v[216:217], s[14:15], v[4:5]
	v_add_f64 v[2:3], v[2:3], v[26:27]
	v_add_f64 v[6:7], v[6:7], v[30:31]
	;; [unrolled: 1-line block ×3, first 2 shown]
	buffer_load_dword v25, off, s[40:43], 0 offset:260 ; 4-byte Folded Reload
	v_add_f64 v[4:5], v[4:5], v[28:29]
	v_lshrrev_b32_e32 v24, 1, v231
	v_mul_u32_u24_e32 v24, 22, v24
	s_waitcnt vmcnt(0)
	v_or_b32_e32 v24, v24, v25
	v_lshl_add_u32 v68, v24, 4, v83
	ds_write_b128 v68, v[8:11]
	ds_write_b128 v68, v[16:19] offset:32
	ds_write_b128 v68, v[144:147] offset:64
	;; [unrolled: 1-line block ×10, first 2 shown]
	v_lshrrev_b32_e32 v8, 1, v229
	buffer_store_dword v8, off, s[40:43], 0 offset:260 ; 4-byte Folded Spill
	s_and_saveexec_b64 s[18:19], vcc
	s_cbranch_execz .LBB0_5
; %bb.4:
	v_add_f64 v[24:25], v[138:139], v[38:39]
	v_add_f64 v[26:27], v[136:137], v[36:37]
	v_mul_f64 v[8:9], v[178:179], s[2:3]
	v_mul_f64 v[12:13], v[178:179], s[0:1]
	;; [unrolled: 1-line block ×6, first 2 shown]
	v_add_f64 v[24:25], v[24:25], v[34:35]
	v_add_f64 v[26:27], v[26:27], v[32:33]
	;; [unrolled: 1-line block ×4, first 2 shown]
	v_mul_f64 v[16:17], v[180:181], s[2:3]
	v_add_f64 v[10:11], v[10:11], -v[60:61]
	v_mul_f64 v[30:31], v[180:181], s[16:17]
	v_add_f64 v[14:15], v[14:15], -v[172:173]
	v_add_f64 v[24:25], v[24:25], v[88:89]
	v_add_f64 v[26:27], v[26:27], v[90:91]
	;; [unrolled: 1-line block ×4, first 2 shown]
	v_mul_f64 v[32:33], v[194:195], s[14:15]
	v_add_f64 v[28:29], v[186:187], v[28:29]
	v_add_f64 v[12:13], v[138:139], v[12:13]
	v_mul_f64 v[36:37], v[192:193], s[14:15]
	v_add_f64 v[24:25], v[24:25], v[86:87]
	v_add_f64 v[26:27], v[26:27], v[84:85]
	v_mul_f64 v[38:39], v[194:195], s[20:21]
	v_add_f64 v[16:17], v[16:17], -v[184:185]
	v_add_f64 v[10:11], v[136:137], v[10:11]
	v_mul_f64 v[34:35], v[192:193], s[20:21]
	v_add_f64 v[30:31], v[30:31], -v[188:189]
	v_add_f64 v[14:15], v[136:137], v[14:15]
	v_add_f64 v[24:25], v[24:25], v[50:51]
	;; [unrolled: 1-line block ×4, first 2 shown]
	v_mul_f64 v[18:19], v[206:207], s[16:17]
	v_add_f64 v[32:33], v[198:199], v[32:33]
	v_add_f64 v[12:13], v[28:29], v[12:13]
	v_mul_f64 v[69:70], v[204:205], s[16:17]
	v_add_f64 v[38:39], v[202:203], v[38:39]
	v_add_f64 v[24:25], v[24:25], v[46:47]
	v_add_f64 v[26:27], v[26:27], v[44:45]
	v_add_f64 v[28:29], v[36:37], -v[196:197]
	v_add_f64 v[10:11], v[16:17], v[10:11]
	v_mul_f64 v[71:72], v[206:207], s[14:15]
	v_mul_f64 v[73:74], v[204:205], s[14:15]
	v_add_f64 v[34:35], v[34:35], -v[200:201]
	v_add_f64 v[14:15], v[30:31], v[14:15]
	v_add_f64 v[24:25], v[24:25], v[42:43]
	;; [unrolled: 1-line block ×5, first 2 shown]
	v_mul_f64 v[77:78], v[216:217], s[20:21]
	v_add_f64 v[8:9], v[38:39], v[8:9]
	v_mul_f64 v[38:39], v[218:219], s[20:21]
	v_add_f64 v[30:31], v[69:70], -v[208:209]
	v_add_f64 v[22:23], v[24:25], v[22:23]
	v_add_f64 v[20:21], v[26:27], v[20:21]
	;; [unrolled: 1-line block ×3, first 2 shown]
	v_mul_f64 v[75:76], v[218:219], s[0:1]
	v_add_f64 v[71:72], v[214:215], v[71:72]
	v_mul_f64 v[79:80], v[216:217], s[0:1]
	v_add_f64 v[16:17], v[73:74], -v[212:213]
	v_add_f64 v[14:15], v[34:35], v[14:15]
	v_add_f64 v[12:13], v[18:19], v[12:13]
	;; [unrolled: 1-line block ×5, first 2 shown]
	v_add_f64 v[28:29], v[77:78], -v[220:221]
	v_add_f64 v[22:23], v[30:31], v[10:11]
	v_add_f64 v[75:76], v[226:227], v[75:76]
	;; [unrolled: 1-line block ×3, first 2 shown]
	v_add_f64 v[24:25], v[79:80], -v[224:225]
	v_add_f64 v[30:31], v[16:17], v[14:15]
	v_add_f64 v[18:19], v[18:19], v[56:57]
	;; [unrolled: 1-line block ×5, first 2 shown]
	v_lshrrev_b32_e32 v20, 1, v229
	v_add_f64 v[10:11], v[75:76], v[8:9]
	v_mul_u32_u24_e32 v20, 22, v20
	v_add_f64 v[8:9], v[24:25], v[30:31]
	v_and_b32_e32 v21, 1, v229
	v_or_b32_e32 v20, v20, v21
	v_lshl_add_u32 v20, v20, 4, v83
	ds_write_b128 v20, v[16:19]
	ds_write_b128 v20, v[12:15] offset:32
	ds_write_b128 v20, v[8:11] offset:64
	;; [unrolled: 1-line block ×10, first 2 shown]
.LBB0_5:
	s_or_b64 exec, exec, s[18:19]
	buffer_load_dword v87, off, s[40:43], 0 ; 4-byte Folded Reload
	s_waitcnt vmcnt(0) lgkmcnt(0)
	s_barrier
	s_mov_b32 s14, 0xe976ee23
	s_mov_b32 s15, 0xbfe11646
	;; [unrolled: 1-line block ×14, first 2 shown]
	v_mov_b32_e32 v88, v83
	v_lshrrev_b16_e32 v24, 1, v87
	v_and_b32_e32 v24, 0x7f, v24
	v_mul_lo_u16_e32 v24, 0xbb, v24
	v_lshrrev_b16_e32 v36, 11, v24
	v_lshlrev_b32_e32 v8, 4, v87
	v_mul_lo_u16_e32 v24, 22, v36
	v_add_co_u32_e64 v34, s[0:1], s8, v8
	v_mov_b32_e32 v8, s9
	v_sub_u16_e32 v24, v87, v24
	v_addc_co_u32_e64 v35, s[0:1], 0, v8, s[0:1]
	v_and_b32_e32 v37, 0xff, v24
	v_mov_b32_e32 v25, s11
	s_movk_i32 s0, 0x60
	v_mov_b32_e32 v24, s10
	v_mad_u64_u32 v[62:63], s[2:3], v37, s0, v[24:25]
	ds_read_b128 v[12:15], v230
	ds_read_b128 v[16:19], v230 offset:2464
	ds_read_b128 v[20:23], v230 offset:4928
	;; [unrolled: 1-line block ×13, first 2 shown]
	global_load_dwordx4 v[136:139], v[62:63], off offset:368
	global_load_dwordx4 v[144:147], v[62:63], off offset:352
	;; [unrolled: 1-line block ×6, first 2 shown]
	s_mov_b32 s8, 0x36b3c0b5
	s_mov_b32 s10, 0x429ad128
	;; [unrolled: 1-line block ×4, first 2 shown]
	v_mul_u32_u24_e32 v36, 0x9a, v36
	v_add_u32_e32 v36, v36, v37
	v_lshl_add_u32 v231, v36, 4, v88
	s_waitcnt vmcnt(2) lgkmcnt(12)
	v_mul_f64 v[69:70], v[18:19], v[158:159]
	v_fma_f64 v[69:70], v[16:17], v[156:157], -v[69:70]
	v_mul_f64 v[16:17], v[16:17], v[158:159]
	v_fma_f64 v[71:72], v[18:19], v[156:157], v[16:17]
	s_waitcnt lgkmcnt(11)
	v_mul_f64 v[16:17], v[22:23], v[154:155]
	v_fma_f64 v[73:74], v[20:21], v[152:153], -v[16:17]
	v_mul_f64 v[16:17], v[20:21], v[154:155]
	v_fma_f64 v[75:76], v[22:23], v[152:153], v[16:17]
	s_waitcnt lgkmcnt(10)
	;; [unrolled: 5-line block ×3, first 2 shown]
	v_mul_f64 v[16:17], v[32:33], v[138:139]
	v_fma_f64 v[81:82], v[30:31], v[136:137], -v[16:17]
	v_mul_f64 v[16:17], v[30:31], v[138:139]
	v_fma_f64 v[192:193], v[32:33], v[136:137], v[16:17]
	s_waitcnt vmcnt(0) lgkmcnt(8)
	v_mul_f64 v[16:17], v[40:41], v[162:163]
	v_fma_f64 v[62:63], v[38:39], v[160:161], -v[16:17]
	v_mul_f64 v[16:17], v[38:39], v[162:163]
	v_fma_f64 v[40:41], v[40:41], v[160:161], v[16:17]
	s_waitcnt lgkmcnt(7)
	v_mul_f64 v[16:17], v[44:45], v[150:151]
	v_fma_f64 v[194:195], v[42:43], v[148:149], -v[16:17]
	v_mul_f64 v[16:17], v[42:43], v[150:151]
	v_fma_f64 v[42:43], v[44:45], v[148:149], v[16:17]
	v_lshrrev_b16_e32 v16, 1, v229
	v_and_b32_e32 v16, 0x7f, v16
	v_mul_lo_u16_e32 v16, 0xbb, v16
	v_lshrrev_b16_e32 v38, 11, v16
	v_mul_lo_u16_e32 v16, 22, v38
	v_sub_u16_e32 v16, v229, v16
	v_and_b32_e32 v39, 0xff, v16
	v_mad_u64_u32 v[44:45], s[2:3], v39, s0, v[24:25]
	global_load_dwordx4 v[164:167], v[44:45], off offset:368
	global_load_dwordx4 v[168:171], v[44:45], off offset:352
	;; [unrolled: 1-line block ×6, first 2 shown]
	s_mov_b32 s2, 0x37e14327
	s_mov_b32 s3, 0x3fe948f6
	v_mad_u64_u32 v[24:25], s[0:1], v87, s0, v[24:25]
	s_waitcnt vmcnt(0) lgkmcnt(0)
	s_barrier
	s_movk_i32 s0, 0x1ce0
	v_lshl_add_u32 v87, v87, 4, v88
	v_mul_f64 v[30:31], v[60:61], v[166:167]
	v_mul_f64 v[28:29], v[54:55], v[170:171]
	;; [unrolled: 1-line block ×7, first 2 shown]
	v_fma_f64 v[30:31], v[58:59], v[164:165], -v[30:31]
	v_fma_f64 v[28:29], v[56:57], v[168:169], v[28:29]
	v_fma_f64 v[26:27], v[52:53], v[172:173], v[20:21]
	;; [unrolled: 1-line block ×3, first 2 shown]
	v_fma_f64 v[196:197], v[184:185], v[180:181], -v[44:45]
	v_mul_f64 v[44:45], v[184:185], v[182:183]
	v_mul_f64 v[18:19], v[52:53], v[174:175]
	v_fma_f64 v[16:17], v[46:47], v[176:177], -v[16:17]
	v_mul_f64 v[20:21], v[56:57], v[170:171]
	v_add_f64 v[46:47], v[71:72], v[42:43]
	v_add_f64 v[52:53], v[75:76], v[40:41]
	v_fma_f64 v[32:33], v[60:61], v[164:165], v[32:33]
	v_add_f64 v[48:49], v[69:70], -v[194:195]
	v_fma_f64 v[184:185], v[186:187], v[180:181], v[44:45]
	v_mul_f64 v[44:45], v[190:191], v[142:143]
	v_fma_f64 v[18:19], v[50:51], v[172:173], -v[18:19]
	v_add_f64 v[50:51], v[73:74], v[62:63]
	v_fma_f64 v[20:21], v[54:55], v[168:169], -v[20:21]
	v_add_f64 v[42:43], v[71:72], -v[42:43]
	v_add_f64 v[54:55], v[73:74], -v[62:63]
	;; [unrolled: 1-line block ×3, first 2 shown]
	v_add_f64 v[56:57], v[77:78], v[81:82]
	v_fma_f64 v[186:187], v[188:189], v[140:141], -v[44:45]
	v_mul_f64 v[44:45], v[188:189], v[142:143]
	v_add_f64 v[58:59], v[79:80], v[192:193]
	v_add_f64 v[60:61], v[81:82], -v[77:78]
	v_add_f64 v[62:63], v[192:193], -v[79:80]
	v_add_f64 v[71:72], v[52:53], v[46:47]
	v_add_f64 v[75:76], v[52:53], -v[46:47]
	v_fma_f64 v[188:189], v[190:191], v[140:141], v[44:45]
	v_add_f64 v[44:45], v[69:70], v[194:195]
	v_add_f64 v[46:47], v[46:47], -v[58:59]
	v_add_f64 v[52:53], v[58:59], -v[52:53]
	v_add_f64 v[77:78], v[60:61], v[54:55]
	v_add_f64 v[79:80], v[62:63], v[40:41]
	v_add_f64 v[81:82], v[60:61], -v[54:55]
	v_add_f64 v[190:191], v[62:63], -v[40:41]
	;; [unrolled: 1-line block ×3, first 2 shown]
	v_add_f64 v[69:70], v[50:51], v[44:45]
	v_add_f64 v[73:74], v[50:51], -v[44:45]
	v_add_f64 v[44:45], v[44:45], -v[56:57]
	;; [unrolled: 1-line block ×4, first 2 shown]
	v_add_f64 v[58:59], v[58:59], v[71:72]
	v_add_f64 v[60:61], v[48:49], -v[60:61]
	v_add_f64 v[62:63], v[42:43], -v[62:63]
	v_add_f64 v[56:57], v[56:57], v[69:70]
	v_add_f64 v[48:49], v[77:78], v[48:49]
	;; [unrolled: 1-line block ×3, first 2 shown]
	v_mul_f64 v[44:45], v[44:45], s[2:3]
	v_mul_f64 v[46:47], v[46:47], s[2:3]
	v_add_f64 v[14:15], v[14:15], v[58:59]
	v_mul_f64 v[69:70], v[50:51], s[8:9]
	v_mul_f64 v[71:72], v[52:53], s[8:9]
	v_add_f64 v[12:13], v[12:13], v[56:57]
	v_mul_f64 v[77:78], v[81:82], s[14:15]
	v_mul_f64 v[79:80], v[190:191], s[14:15]
	;; [unrolled: 1-line block ×4, first 2 shown]
	v_fma_f64 v[58:59], v[58:59], s[16:17], v[14:15]
	v_fma_f64 v[50:51], v[50:51], s[8:9], v[44:45]
	;; [unrolled: 1-line block ×4, first 2 shown]
	v_fma_f64 v[69:70], v[73:74], s[18:19], -v[69:70]
	v_fma_f64 v[71:72], v[75:76], s[18:19], -v[71:72]
	;; [unrolled: 1-line block ×4, first 2 shown]
	v_fma_f64 v[73:74], v[60:61], s[24:25], v[77:78]
	v_fma_f64 v[75:76], v[62:63], s[24:25], v[79:80]
	v_fma_f64 v[54:55], v[54:55], s[10:11], -v[77:78]
	v_fma_f64 v[40:41], v[40:41], s[10:11], -v[79:80]
	;; [unrolled: 1-line block ×4, first 2 shown]
	v_add_f64 v[77:78], v[50:51], v[56:57]
	v_add_f64 v[79:80], v[52:53], v[58:59]
	;; [unrolled: 1-line block ×6, first 2 shown]
	v_fma_f64 v[71:72], v[48:49], s[20:21], v[73:74]
	v_fma_f64 v[73:74], v[42:43], s[20:21], v[75:76]
	;; [unrolled: 1-line block ×6, first 2 shown]
	v_add_f64 v[42:43], v[79:80], -v[71:72]
	v_add_f64 v[40:41], v[73:74], v[77:78]
	v_add_f64 v[50:51], v[54:55], v[69:70]
	v_add_f64 v[48:49], v[52:53], -v[75:76]
	v_add_f64 v[46:47], v[58:59], -v[60:61]
	v_add_f64 v[44:45], v[62:63], v[56:57]
	v_add_f64 v[52:53], v[75:76], v[52:53]
	v_add_f64 v[54:55], v[69:70], -v[54:55]
	v_add_f64 v[56:57], v[56:57], -v[62:63]
	v_add_f64 v[58:59], v[60:61], v[58:59]
	v_add_f64 v[60:61], v[77:78], -v[73:74]
	v_add_f64 v[62:63], v[71:72], v[79:80]
	v_add_f64 v[69:70], v[16:17], v[186:187]
	;; [unrolled: 1-line block ×5, first 2 shown]
	v_add_f64 v[18:19], v[18:19], -v[196:197]
	v_add_f64 v[26:27], v[26:27], -v[184:185]
	v_add_f64 v[77:78], v[20:21], v[30:31]
	v_add_f64 v[79:80], v[28:29], v[32:33]
	v_add_f64 v[20:21], v[30:31], -v[20:21]
	v_add_f64 v[28:29], v[32:33], -v[28:29]
	v_add_f64 v[30:31], v[73:74], v[69:70]
	v_add_f64 v[32:33], v[75:76], v[71:72]
	v_add_f64 v[16:17], v[16:17], -v[186:187]
	v_add_f64 v[22:23], v[22:23], -v[188:189]
	v_add_f64 v[81:82], v[73:74], -v[69:70]
	v_add_f64 v[184:185], v[75:76], -v[71:72]
	v_add_f64 v[69:70], v[69:70], -v[77:78]
	v_add_f64 v[71:72], v[71:72], -v[79:80]
	v_add_f64 v[73:74], v[77:78], -v[73:74]
	v_add_f64 v[75:76], v[79:80], -v[75:76]
	v_add_f64 v[186:187], v[20:21], v[18:19]
	v_add_f64 v[188:189], v[28:29], v[26:27]
	v_add_f64 v[190:191], v[20:21], -v[18:19]
	v_add_f64 v[192:193], v[28:29], -v[26:27]
	v_add_f64 v[30:31], v[77:78], v[30:31]
	v_add_f64 v[32:33], v[79:80], v[32:33]
	v_add_f64 v[18:19], v[18:19], -v[16:17]
	v_add_f64 v[26:27], v[26:27], -v[22:23]
	;; [unrolled: 1-line block ×4, first 2 shown]
	v_add_f64 v[16:17], v[186:187], v[16:17]
	v_add_f64 v[22:23], v[188:189], v[22:23]
	v_add_f64 v[8:9], v[8:9], v[30:31]
	v_add_f64 v[10:11], v[10:11], v[32:33]
	v_mul_f64 v[69:70], v[69:70], s[2:3]
	v_mul_f64 v[71:72], v[71:72], s[2:3]
	;; [unrolled: 1-line block ×8, first 2 shown]
	v_fma_f64 v[30:31], v[30:31], s[16:17], v[8:9]
	v_fma_f64 v[32:33], v[32:33], s[16:17], v[10:11]
	;; [unrolled: 1-line block ×4, first 2 shown]
	v_fma_f64 v[77:78], v[81:82], s[18:19], -v[77:78]
	v_fma_f64 v[79:80], v[184:185], s[18:19], -v[79:80]
	;; [unrolled: 1-line block ×4, first 2 shown]
	v_fma_f64 v[81:82], v[20:21], s[24:25], v[186:187]
	v_fma_f64 v[184:185], v[28:29], s[24:25], v[188:189]
	v_fma_f64 v[20:21], v[20:21], s[26:27], -v[190:191]
	v_fma_f64 v[28:29], v[28:29], s[26:27], -v[192:193]
	;; [unrolled: 1-line block ×4, first 2 shown]
	v_add_f64 v[73:74], v[73:74], v[30:31]
	v_add_f64 v[75:76], v[75:76], v[32:33]
	v_fma_f64 v[81:82], v[16:17], s[20:21], v[81:82]
	v_fma_f64 v[188:189], v[22:23], s[20:21], v[184:185]
	v_add_f64 v[69:70], v[69:70], v[30:31]
	v_add_f64 v[71:72], v[71:72], v[32:33]
	v_fma_f64 v[186:187], v[16:17], s[20:21], v[20:21]
	v_fma_f64 v[184:185], v[22:23], s[20:21], v[28:29]
	;; [unrolled: 4-line block ×3, first 2 shown]
	v_add_f64 v[16:17], v[188:189], v[73:74]
	v_add_f64 v[18:19], v[75:76], -v[81:82]
	v_add_f64 v[22:23], v[71:72], -v[186:187]
	v_add_f64 v[20:21], v[184:185], v[69:70]
	v_add_f64 v[184:185], v[69:70], -v[184:185]
	v_add_f64 v[186:187], v[186:187], v[71:72]
	v_add_f64 v[28:29], v[32:33], v[79:80]
	v_add_f64 v[26:27], v[77:78], -v[30:31]
	v_add_f64 v[30:31], v[30:31], v[77:78]
	v_add_f64 v[32:33], v[79:80], -v[32:33]
	ds_write_b128 v231, v[12:15]
	ds_write_b128 v231, v[40:43] offset:352
	ds_write_b128 v231, v[44:47] offset:704
	;; [unrolled: 1-line block ×6, first 2 shown]
	v_mul_u32_u24_e32 v12, 0x9a, v38
	v_add_f64 v[188:189], v[73:74], -v[188:189]
	v_add_f64 v[190:191], v[81:82], v[75:76]
	v_add_u32_e32 v12, v12, v39
	v_lshl_add_u32 v229, v12, 4, v88
	ds_write_b128 v229, v[8:11]
	ds_write_b128 v229, v[16:19] offset:352
	ds_write_b128 v229, v[20:23] offset:704
	ds_write_b128 v229, v[26:29] offset:1056
	ds_write_b128 v229, v[30:33] offset:1408
	ds_write_b128 v229, v[184:187] offset:1760
	ds_write_b128 v229, v[188:191] offset:2112
	s_waitcnt lgkmcnt(0)
	s_barrier
	ds_read_b128 v[12:15], v230
	ds_read_b128 v[26:29], v230 offset:2464
	ds_read_b128 v[30:33], v230 offset:4928
	;; [unrolled: 1-line block ×13, first 2 shown]
	global_load_dwordx4 v[184:187], v[24:25], off offset:2480
	global_load_dwordx4 v[188:191], v[24:25], off offset:2464
	;; [unrolled: 1-line block ×6, first 2 shown]
	v_add_co_u32_e64 v24, s[0:1], s0, v24
	v_addc_co_u32_e64 v25, s[0:1], 0, v25, s[0:1]
	global_load_dwordx4 v[212:215], v[24:25], off offset:2480
	global_load_dwordx4 v[216:219], v[24:25], off offset:2464
	;; [unrolled: 1-line block ×4, first 2 shown]
	s_movk_i32 s0, 0x4360
	s_waitcnt vmcnt(6) lgkmcnt(12)
	v_mul_f64 v[69:70], v[28:29], v[198:199]
	s_waitcnt vmcnt(3) lgkmcnt(2)
	v_mul_f64 v[71:72], v[200:201], v[214:215]
	v_fma_f64 v[69:70], v[26:27], v[196:197], -v[69:70]
	v_mul_f64 v[26:27], v[26:27], v[198:199]
	v_fma_f64 v[71:72], v[202:203], v[212:213], v[71:72]
	v_fma_f64 v[26:27], v[28:29], v[196:197], v[26:27]
	v_mul_f64 v[28:29], v[32:33], v[194:195]
	v_fma_f64 v[28:29], v[30:31], v[192:193], -v[28:29]
	v_mul_f64 v[30:31], v[30:31], v[194:195]
	v_fma_f64 v[30:31], v[32:33], v[192:193], v[30:31]
	v_mul_f64 v[32:33], v[38:39], v[190:191]
	v_fma_f64 v[32:33], v[36:37], v[188:189], -v[32:33]
	v_mul_f64 v[36:37], v[36:37], v[190:191]
	;; [unrolled: 4-line block ×5, first 2 shown]
	v_fma_f64 v[48:49], v[50:51], v[204:205], v[48:49]
	s_waitcnt vmcnt(0)
	v_mul_f64 v[50:51], v[54:55], v[226:227]
	v_fma_f64 v[50:51], v[52:53], v[224:225], -v[50:51]
	v_mul_f64 v[52:53], v[52:53], v[226:227]
	v_fma_f64 v[52:53], v[54:55], v[224:225], v[52:53]
	v_mul_f64 v[54:55], v[58:59], v[222:223]
	v_fma_f64 v[54:55], v[56:57], v[220:221], -v[54:55]
	v_mul_f64 v[56:57], v[56:57], v[222:223]
	v_fma_f64 v[56:57], v[58:59], v[220:221], v[56:57]
	v_mul_f64 v[58:59], v[62:63], v[218:219]
	v_fma_f64 v[58:59], v[60:61], v[216:217], -v[58:59]
	v_mul_f64 v[60:61], v[60:61], v[218:219]
	v_fma_f64 v[60:61], v[62:63], v[216:217], v[60:61]
	v_mul_f64 v[62:63], v[202:203], v[214:215]
	v_fma_f64 v[62:63], v[200:201], v[212:213], -v[62:63]
	global_load_dwordx4 v[200:203], v[24:25], off offset:2512
	global_load_dwordx4 v[232:235], v[24:25], off offset:2496
	s_waitcnt vmcnt(0) lgkmcnt(1)
	v_mul_f64 v[24:25], v[22:23], v[234:235]
	v_fma_f64 v[73:74], v[20:21], v[232:233], -v[24:25]
	v_mul_f64 v[20:21], v[20:21], v[234:235]
	v_add_f64 v[24:25], v[28:29], v[42:43]
	v_add_f64 v[28:29], v[28:29], -v[42:43]
	v_add_f64 v[42:43], v[32:33], v[38:39]
	v_add_f64 v[32:33], v[38:39], -v[32:33]
	v_fma_f64 v[75:76], v[22:23], v[232:233], v[20:21]
	s_waitcnt lgkmcnt(0)
	v_mul_f64 v[20:21], v[18:19], v[202:203]
	v_add_f64 v[22:23], v[26:27], -v[48:49]
	v_add_f64 v[83:84], v[32:33], -v[28:29]
	v_fma_f64 v[77:78], v[16:17], v[200:201], -v[20:21]
	v_mul_f64 v[16:17], v[16:17], v[202:203]
	v_add_f64 v[20:21], v[69:70], -v[46:47]
	v_fma_f64 v[79:80], v[18:19], v[200:201], v[16:17]
	v_add_f64 v[16:17], v[69:70], v[46:47]
	v_add_f64 v[18:19], v[26:27], v[48:49]
	;; [unrolled: 1-line block ×3, first 2 shown]
	v_add_f64 v[30:31], v[30:31], -v[44:45]
	v_add_f64 v[44:45], v[36:37], v[40:41]
	v_add_f64 v[36:37], v[40:41], -v[36:37]
	v_add_f64 v[69:70], v[32:33], v[28:29]
	;; [unrolled: 2-line block ×4, first 2 shown]
	v_add_f64 v[48:49], v[26:27], -v[18:19]
	v_add_f64 v[16:17], v[16:17], -v[42:43]
	;; [unrolled: 1-line block ×5, first 2 shown]
	v_add_f64 v[81:82], v[36:37], v[30:31]
	v_add_f64 v[85:86], v[36:37], -v[30:31]
	v_add_f64 v[30:31], v[30:31], -v[22:23]
	v_add_f64 v[38:39], v[42:43], v[38:39]
	v_add_f64 v[40:41], v[44:45], v[40:41]
	v_add_f64 v[32:33], v[20:21], -v[32:33]
	v_add_f64 v[36:37], v[22:23], -v[36:37]
	v_add_f64 v[20:21], v[69:70], v[20:21]
	v_add_f64 v[22:23], v[81:82], v[22:23]
	v_mul_f64 v[16:17], v[16:17], s[2:3]
	v_mul_f64 v[18:19], v[18:19], s[2:3]
	v_add_f64 v[12:13], v[12:13], v[38:39]
	v_add_f64 v[14:15], v[14:15], v[40:41]
	v_mul_f64 v[42:43], v[24:25], s[8:9]
	v_mul_f64 v[44:45], v[26:27], s[8:9]
	;; [unrolled: 1-line block ×6, first 2 shown]
	v_fma_f64 v[38:39], v[38:39], s[16:17], v[12:13]
	v_fma_f64 v[40:41], v[40:41], s[16:17], v[14:15]
	v_fma_f64 v[24:25], v[24:25], s[8:9], v[16:17]
	v_fma_f64 v[26:27], v[26:27], s[8:9], v[18:19]
	v_fma_f64 v[42:43], v[46:47], s[18:19], -v[42:43]
	v_fma_f64 v[44:45], v[48:49], s[18:19], -v[44:45]
	;; [unrolled: 1-line block ×4, first 2 shown]
	v_fma_f64 v[46:47], v[32:33], s[24:25], v[69:70]
	v_fma_f64 v[48:49], v[36:37], s[24:25], v[81:82]
	v_fma_f64 v[28:29], v[28:29], s[10:11], -v[69:70]
	v_fma_f64 v[30:31], v[30:31], s[10:11], -v[81:82]
	v_fma_f64 v[32:33], v[32:33], s[26:27], -v[83:84]
	v_fma_f64 v[36:37], v[36:37], s[26:27], -v[85:86]
	v_add_f64 v[69:70], v[24:25], v[38:39]
	v_add_f64 v[81:82], v[26:27], v[40:41]
	;; [unrolled: 1-line block ×6, first 2 shown]
	v_fma_f64 v[46:47], v[20:21], s[20:21], v[46:47]
	v_fma_f64 v[48:49], v[22:23], s[20:21], v[48:49]
	;; [unrolled: 1-line block ×6, first 2 shown]
	v_add_f64 v[18:19], v[81:82], -v[46:47]
	v_add_f64 v[16:17], v[48:49], v[69:70]
	v_add_f64 v[26:27], v[83:84], v[44:45]
	v_add_f64 v[24:25], v[42:43], -v[28:29]
	v_add_f64 v[22:23], v[40:41], -v[32:33]
	v_add_f64 v[20:21], v[36:37], v[38:39]
	v_add_f64 v[28:29], v[28:29], v[42:43]
	v_add_f64 v[30:31], v[44:45], -v[83:84]
	v_add_f64 v[36:37], v[38:39], -v[36:37]
	v_add_f64 v[38:39], v[32:33], v[40:41]
	v_add_f64 v[40:41], v[69:70], -v[48:49]
	v_add_f64 v[42:43], v[46:47], v[81:82]
	v_add_f64 v[32:33], v[50:51], v[77:78]
	;; [unrolled: 1-line block ×3, first 2 shown]
	v_add_f64 v[46:47], v[50:51], -v[77:78]
	v_add_f64 v[48:49], v[52:53], -v[79:80]
	v_add_f64 v[50:51], v[54:55], v[73:74]
	v_add_f64 v[52:53], v[56:57], v[75:76]
	v_add_f64 v[54:55], v[54:55], -v[73:74]
	v_add_f64 v[56:57], v[56:57], -v[75:76]
	v_add_f64 v[69:70], v[58:59], v[62:63]
	v_add_f64 v[73:74], v[60:61], v[71:72]
	;; [unrolled: 4-line block ×3, first 2 shown]
	v_add_f64 v[75:76], v[50:51], -v[32:33]
	v_add_f64 v[77:78], v[52:53], -v[44:45]
	v_add_f64 v[32:33], v[32:33], -v[69:70]
	v_add_f64 v[44:45], v[44:45], -v[73:74]
	v_add_f64 v[50:51], v[69:70], -v[50:51]
	v_add_f64 v[52:53], v[73:74], -v[52:53]
	v_add_f64 v[79:80], v[58:59], v[54:55]
	v_add_f64 v[81:82], v[60:61], v[56:57]
	v_add_f64 v[83:84], v[58:59], -v[54:55]
	v_add_f64 v[85:86], v[60:61], -v[56:57]
	v_add_f64 v[62:63], v[69:70], v[62:63]
	v_add_f64 v[69:70], v[73:74], v[71:72]
	v_add_f64 v[54:55], v[54:55], -v[46:47]
	v_add_f64 v[56:57], v[56:57], -v[48:49]
	;; [unrolled: 1-line block ×4, first 2 shown]
	v_add_f64 v[46:47], v[79:80], v[46:47]
	v_add_f64 v[48:49], v[81:82], v[48:49]
	;; [unrolled: 1-line block ×4, first 2 shown]
	v_mul_f64 v[32:33], v[32:33], s[2:3]
	v_mul_f64 v[44:45], v[44:45], s[2:3]
	;; [unrolled: 1-line block ×8, first 2 shown]
	v_fma_f64 v[62:63], v[62:63], s[16:17], v[8:9]
	v_fma_f64 v[69:70], v[69:70], s[16:17], v[10:11]
	;; [unrolled: 1-line block ×4, first 2 shown]
	v_fma_f64 v[71:72], v[75:76], s[18:19], -v[71:72]
	v_fma_f64 v[73:74], v[77:78], s[18:19], -v[73:74]
	;; [unrolled: 1-line block ×4, first 2 shown]
	v_fma_f64 v[75:76], v[58:59], s[24:25], v[79:80]
	v_fma_f64 v[77:78], v[60:61], s[24:25], v[81:82]
	v_fma_f64 v[58:59], v[58:59], s[26:27], -v[83:84]
	v_fma_f64 v[60:61], v[60:61], s[26:27], -v[85:86]
	v_fma_f64 v[54:55], v[54:55], s[10:11], -v[79:80]
	v_fma_f64 v[56:57], v[56:57], s[10:11], -v[81:82]
	v_add_f64 v[79:80], v[50:51], v[62:63]
	v_add_f64 v[81:82], v[52:53], v[69:70]
	;; [unrolled: 1-line block ×6, first 2 shown]
	v_fma_f64 v[75:76], v[46:47], s[20:21], v[75:76]
	v_fma_f64 v[69:70], v[48:49], s[20:21], v[77:78]
	;; [unrolled: 1-line block ×6, first 2 shown]
	ds_write_b128 v230, v[12:15]
	ds_write_b128 v230, v[16:19] offset:2464
	ds_write_b128 v230, v[20:23] offset:4928
	;; [unrolled: 1-line block ×3, first 2 shown]
	v_add_co_u32_e64 v20, s[0:1], s0, v34
	v_add_f64 v[44:45], v[69:70], v[79:80]
	v_add_f64 v[46:47], v[81:82], -v[75:76]
	v_addc_co_u32_e64 v21, s[0:1], 0, v35, s[0:1]
	v_add_f64 v[48:49], v[60:61], v[32:33]
	v_add_f64 v[50:51], v[62:63], -v[83:84]
	s_movk_i32 s0, 0x4000
	v_add_f64 v[52:53], v[71:72], -v[56:57]
	v_add_f64 v[54:55], v[77:78], v[73:74]
	v_add_co_u32_e64 v12, s[0:1], s0, v34
	v_add_f64 v[56:57], v[56:57], v[71:72]
	v_add_f64 v[58:59], v[73:74], -v[77:78]
	v_addc_co_u32_e64 v13, s[0:1], 0, v35, s[0:1]
	v_add_f64 v[60:61], v[32:33], -v[60:61]
	v_add_f64 v[62:63], v[83:84], v[62:63]
	v_add_f64 v[69:70], v[79:80], -v[69:70]
	v_add_f64 v[71:72], v[75:76], v[81:82]
	ds_write_b128 v87, v[28:31] offset:9856
	ds_write_b128 v87, v[36:39] offset:12320
	;; [unrolled: 1-line block ×10, first 2 shown]
	s_waitcnt lgkmcnt(0)
	s_barrier
	global_load_dwordx4 v[12:15], v[12:13], off offset:864
	ds_read_b128 v[8:11], v230
	s_movk_i32 s0, 0x6000
	v_add_co_u32_e64 v22, s[0:1], s0, v34
	v_addc_co_u32_e64 v23, s[0:1], 0, v35, s[0:1]
	s_movk_i32 s0, 0x7000
	s_waitcnt vmcnt(0) lgkmcnt(0)
	v_mul_f64 v[16:17], v[10:11], v[14:15]
	v_fma_f64 v[16:17], v[8:9], v[12:13], -v[16:17]
	v_mul_f64 v[8:9], v[8:9], v[14:15]
	v_fma_f64 v[18:19], v[10:11], v[12:13], v[8:9]
	global_load_dwordx4 v[12:15], v[22:23], off offset:1296
	ds_read_b128 v[8:11], v230 offset:8624
	ds_write_b128 v230, v[16:19]
	s_waitcnt vmcnt(0) lgkmcnt(1)
	v_mul_f64 v[16:17], v[10:11], v[14:15]
	v_fma_f64 v[16:17], v[8:9], v[12:13], -v[16:17]
	v_mul_f64 v[8:9], v[8:9], v[14:15]
	v_fma_f64 v[18:19], v[10:11], v[12:13], v[8:9]
	global_load_dwordx4 v[12:15], v[20:21], off offset:1232
	ds_read_b128 v[8:11], v230 offset:1232
	ds_write_b128 v230, v[16:19] offset:8624
	s_waitcnt vmcnt(0) lgkmcnt(1)
	v_mul_f64 v[16:17], v[10:11], v[14:15]
	v_fma_f64 v[16:17], v[8:9], v[12:13], -v[16:17]
	v_mul_f64 v[8:9], v[8:9], v[14:15]
	v_fma_f64 v[18:19], v[10:11], v[12:13], v[8:9]
	global_load_dwordx4 v[12:15], v[22:23], off offset:2528
	ds_read_b128 v[8:11], v230 offset:9856
	ds_write_b128 v230, v[16:19] offset:1232
	;; [unrolled: 8-line block ×4, first 2 shown]
	s_waitcnt vmcnt(0) lgkmcnt(1)
	v_mul_f64 v[16:17], v[10:11], v[14:15]
	v_fma_f64 v[16:17], v[8:9], v[12:13], -v[16:17]
	v_mul_f64 v[8:9], v[8:9], v[14:15]
	v_fma_f64 v[18:19], v[10:11], v[12:13], v[8:9]
	global_load_dwordx4 v[12:15], v[20:21], off offset:3696
	ds_read_b128 v[8:11], v230 offset:3696
	v_add_co_u32_e64 v20, s[0:1], s0, v34
	v_addc_co_u32_e64 v21, s[0:1], 0, v35, s[0:1]
	s_movk_i32 s0, 0x5000
	ds_write_b128 v230, v[16:19] offset:11088
	v_add_co_u32_e64 v24, s[0:1], s0, v34
	v_addc_co_u32_e64 v25, s[0:1], 0, v35, s[0:1]
	s_mov_b32 s0, 0x8000
	s_waitcnt vmcnt(0) lgkmcnt(1)
	v_mul_f64 v[16:17], v[10:11], v[14:15]
	v_fma_f64 v[16:17], v[8:9], v[12:13], -v[16:17]
	v_mul_f64 v[8:9], v[8:9], v[14:15]
	v_fma_f64 v[18:19], v[10:11], v[12:13], v[8:9]
	global_load_dwordx4 v[12:15], v[20:21], off offset:896
	ds_read_b128 v[8:11], v230 offset:12320
	ds_write_b128 v230, v[16:19] offset:3696
	s_waitcnt vmcnt(0) lgkmcnt(1)
	v_mul_f64 v[16:17], v[10:11], v[14:15]
	v_fma_f64 v[16:17], v[8:9], v[12:13], -v[16:17]
	v_mul_f64 v[8:9], v[8:9], v[14:15]
	v_fma_f64 v[18:19], v[10:11], v[12:13], v[8:9]
	global_load_dwordx4 v[12:15], v[24:25], off offset:1696
	ds_read_b128 v[8:11], v230 offset:4928
	ds_write_b128 v230, v[16:19] offset:12320
	;; [unrolled: 8-line block ×6, first 2 shown]
	s_waitcnt vmcnt(0) lgkmcnt(1)
	v_mul_f64 v[16:17], v[10:11], v[14:15]
	v_fma_f64 v[16:17], v[8:9], v[12:13], -v[16:17]
	v_mul_f64 v[8:9], v[8:9], v[14:15]
	v_fma_f64 v[18:19], v[10:11], v[12:13], v[8:9]
	v_add_co_u32_e64 v12, s[0:1], s0, v34
	v_addc_co_u32_e64 v13, s[0:1], 0, v35, s[0:1]
	global_load_dwordx4 v[12:15], v[12:13], off offset:496
	ds_read_b128 v[8:11], v230 offset:16016
	ds_write_b128 v230, v[16:19] offset:7392
	s_waitcnt vmcnt(0) lgkmcnt(1)
	v_mul_f64 v[16:17], v[10:11], v[14:15]
	v_fma_f64 v[16:17], v[8:9], v[12:13], -v[16:17]
	v_mul_f64 v[8:9], v[8:9], v[14:15]
	v_fma_f64 v[18:19], v[10:11], v[12:13], v[8:9]
	ds_write_b128 v230, v[16:19] offset:16016
	s_waitcnt lgkmcnt(0)
	s_barrier
	ds_read_b128 v[8:11], v230
	ds_read_b128 v[12:15], v230 offset:8624
	ds_read_b128 v[16:19], v230 offset:1232
	;; [unrolled: 1-line block ×13, first 2 shown]
	s_waitcnt lgkmcnt(12)
	v_add_f64 v[69:70], v[8:9], -v[12:13]
	s_waitcnt lgkmcnt(0)
	s_barrier
	v_add_f64 v[71:72], v[10:11], -v[14:15]
	v_add_f64 v[20:21], v[16:17], -v[20:21]
	v_add_f64 v[22:23], v[18:19], -v[22:23]
	v_add_f64 v[28:29], v[24:25], -v[28:29]
	v_fma_f64 v[73:74], v[8:9], 2.0, -v[69:70]
	v_add_f64 v[8:9], v[48:49], -v[52:53]
	buffer_load_dword v52, off, s[40:43], 0 offset:232 ; 4-byte Folded Reload
	v_add_f64 v[30:31], v[26:27], -v[30:31]
	v_fma_f64 v[75:76], v[10:11], 2.0, -v[71:72]
	s_waitcnt vmcnt(0)
	ds_write_b128 v52, v[73:76]
	ds_write_b128 v52, v[69:72] offset:16
	buffer_load_dword v52, off, s[40:43], 0 offset:236 ; 4-byte Folded Reload
	v_fma_f64 v[77:78], v[16:17], 2.0, -v[20:21]
	v_fma_f64 v[79:80], v[18:19], 2.0, -v[22:23]
	s_waitcnt vmcnt(0)
	ds_write_b128 v52, v[77:80]
	ds_write_b128 v52, v[20:23] offset:16
	buffer_load_dword v20, off, s[40:43], 0 offset:256 ; 4-byte Folded Reload
	v_fma_f64 v[24:25], v[24:25], 2.0, -v[28:29]
	v_fma_f64 v[26:27], v[26:27], 2.0, -v[30:31]
	s_waitcnt vmcnt(0)
	ds_write_b128 v20, v[24:27]
	ds_write_b128 v20, v[28:31] offset:16
	buffer_load_dword v20, off, s[40:43], 0 offset:252 ; 4-byte Folded Reload
	v_add_f64 v[36:37], v[32:33], -v[36:37]
	v_add_f64 v[38:39], v[34:35], -v[38:39]
	;; [unrolled: 1-line block ×5, first 2 shown]
	v_fma_f64 v[48:49], v[48:49], 2.0, -v[8:9]
	v_add_f64 v[16:17], v[56:57], -v[60:61]
	v_add_f64 v[18:19], v[58:59], -v[62:63]
	v_fma_f64 v[32:33], v[32:33], 2.0, -v[36:37]
	v_fma_f64 v[34:35], v[34:35], 2.0, -v[38:39]
	s_waitcnt vmcnt(0)
	ds_write_b128 v20, v[32:35]
	ds_write_b128 v20, v[36:39] offset:16
	buffer_load_dword v20, off, s[40:43], 0 offset:248 ; 4-byte Folded Reload
	v_fma_f64 v[40:41], v[40:41], 2.0, -v[44:45]
	v_fma_f64 v[42:43], v[42:43], 2.0, -v[46:47]
	s_waitcnt vmcnt(0)
	ds_write_b128 v20, v[40:43]
	ds_write_b128 v20, v[44:47] offset:16
	buffer_load_dword v20, off, s[40:43], 0 offset:244 ; 4-byte Folded Reload
	v_fma_f64 v[50:51], v[50:51], 2.0, -v[10:11]
	s_waitcnt vmcnt(0)
	ds_write_b128 v20, v[48:51]
	ds_write_b128 v20, v[8:11] offset:16
	buffer_load_dword v20, off, s[40:43], 0 offset:240 ; 4-byte Folded Reload
	v_fma_f64 v[12:13], v[56:57], 2.0, -v[16:17]
	v_fma_f64 v[14:15], v[58:59], 2.0, -v[18:19]
	s_waitcnt vmcnt(0)
	ds_write_b128 v20, v[12:15]
	ds_write_b128 v20, v[16:19] offset:16
	s_waitcnt lgkmcnt(0)
	s_barrier
	ds_read_b128 v[20:23], v230
	ds_read_b128 v[60:63], v230 offset:1568
	ds_read_b128 v[56:59], v230 offset:3136
	;; [unrolled: 1-line block ×10, first 2 shown]
	s_and_saveexec_b64 s[0:1], vcc
	s_cbranch_execz .LBB0_7
; %bb.6:
	ds_read_b128 v[8:11], v230 offset:1232
	ds_read_b128 v[12:15], v230 offset:2800
	;; [unrolled: 1-line block ×11, first 2 shown]
.LBB0_7:
	s_or_b64 exec, exec, s[0:1]
	s_waitcnt lgkmcnt(9)
	v_mul_f64 v[69:70], v[122:123], v[62:63]
	s_mov_b32 s2, 0xf8bb580b
	s_mov_b32 s10, 0x8eee2c13
	;; [unrolled: 1-line block ×7, first 2 shown]
	v_fma_f64 v[69:70], v[120:121], v[60:61], v[69:70]
	v_mul_f64 v[60:61], v[122:123], v[60:61]
	s_mov_b32 s17, 0xbfefac9e
	s_mov_b32 s21, 0xbfe82f19
	;; [unrolled: 1-line block ×7, first 2 shown]
	v_fma_f64 v[60:61], v[120:121], v[62:63], -v[60:61]
	s_waitcnt lgkmcnt(8)
	v_mul_f64 v[62:63], v[106:107], v[58:59]
	s_mov_b32 s22, 0x9bcd5057
	s_mov_b32 s1, 0x3feaeb8c
	;; [unrolled: 1-line block ×6, first 2 shown]
	v_add_f64 v[71:72], v[22:23], v[60:61]
	v_fma_f64 v[62:63], v[104:105], v[56:57], v[62:63]
	v_mul_f64 v[56:57], v[106:107], v[56:57]
	s_mov_b32 s25, 0x3fe14ced
	s_mov_b32 s24, s2
	;; [unrolled: 1-line block ×7, first 2 shown]
	v_fma_f64 v[58:59], v[104:105], v[58:59], -v[56:57]
	s_waitcnt lgkmcnt(7)
	v_mul_f64 v[56:57], v[102:103], v[54:55]
	s_mov_b32 s36, s20
	s_mov_b32 s31, 0x3fd207e7
	;; [unrolled: 1-line block ×3, first 2 shown]
	v_add_u32_e32 v88, 0x4d0, v230
	s_waitcnt lgkmcnt(0)
	s_barrier
	v_add_f64 v[71:72], v[71:72], v[58:59]
	v_fma_f64 v[56:57], v[100:101], v[52:53], v[56:57]
	v_mul_f64 v[52:53], v[102:103], v[52:53]
	v_fma_f64 v[54:55], v[100:101], v[54:55], -v[52:53]
	v_mul_f64 v[52:53], v[98:99], v[50:51]
	v_add_f64 v[71:72], v[71:72], v[54:55]
	v_fma_f64 v[52:53], v[96:97], v[48:49], v[52:53]
	v_mul_f64 v[48:49], v[98:99], v[48:49]
	v_fma_f64 v[50:51], v[96:97], v[50:51], -v[48:49]
	v_mul_f64 v[48:49], v[130:131], v[46:47]
	;; [unrolled: 5-line block ×7, first 2 shown]
	v_add_f64 v[71:72], v[71:72], v[28:29]
	v_fma_f64 v[30:31], v[124:125], v[24:25], v[30:31]
	v_mul_f64 v[24:25], v[126:127], v[24:25]
	v_fma_f64 v[24:25], v[124:125], v[26:27], -v[24:25]
	v_add_f64 v[26:27], v[20:21], v[69:70]
	v_add_f64 v[98:99], v[71:72], v[24:25]
	;; [unrolled: 1-line block ×4, first 2 shown]
	v_add_f64 v[24:25], v[60:61], -v[24:25]
	v_add_f64 v[26:27], v[26:27], v[56:57]
	v_mul_f64 v[73:74], v[71:72], s[0:1]
	v_mul_f64 v[60:61], v[24:25], s[2:3]
	v_mul_f64 v[77:78], v[24:25], s[10:11]
	v_mul_f64 v[85:86], v[24:25], s[16:17]
	v_mul_f64 v[106:107], v[24:25], s[20:21]
	v_mul_f64 v[24:25], v[24:25], s[26:27]
	v_mul_f64 v[81:82], v[71:72], s[8:9]
	v_add_f64 v[26:27], v[26:27], v[52:53]
	v_mul_f64 v[102:103], v[71:72], s[14:15]
	v_mul_f64 v[110:111], v[71:72], s[18:19]
	;; [unrolled: 1-line block ×3, first 2 shown]
	v_add_f64 v[26:27], v[26:27], v[48:49]
	v_add_f64 v[26:27], v[26:27], v[46:47]
	;; [unrolled: 1-line block ×7, first 2 shown]
	v_add_f64 v[30:31], v[69:70], -v[30:31]
	v_fma_f64 v[69:70], v[26:27], s[0:1], v[60:61]
	v_fma_f64 v[60:61], v[26:27], s[0:1], -v[60:61]
	v_fma_f64 v[79:80], v[26:27], s[8:9], v[77:78]
	v_fma_f64 v[77:78], v[26:27], s[8:9], -v[77:78]
	;; [unrolled: 2-line block ×5, first 2 shown]
	v_add_f64 v[69:70], v[20:21], v[69:70]
	v_fma_f64 v[75:76], v[30:31], s[24:25], v[73:74]
	v_add_f64 v[60:61], v[20:21], v[60:61]
	v_fma_f64 v[73:74], v[30:31], s[2:3], v[73:74]
	;; [unrolled: 2-line block ×10, first 2 shown]
	v_add_f64 v[26:27], v[58:59], v[28:29]
	v_add_f64 v[28:29], v[58:59], -v[28:29]
	v_add_f64 v[75:76], v[22:23], v[75:76]
	v_add_f64 v[73:74], v[22:23], v[73:74]
	;; [unrolled: 1-line block ×11, first 2 shown]
	v_add_f64 v[30:31], v[62:63], -v[34:35]
	v_mul_f64 v[34:35], v[28:29], s[10:11]
	v_mul_f64 v[62:63], v[26:27], s[8:9]
	v_fma_f64 v[58:59], v[24:25], s[8:9], v[34:35]
	v_fma_f64 v[34:35], v[24:25], s[8:9], -v[34:35]
	v_add_f64 v[58:59], v[58:59], v[69:70]
	v_fma_f64 v[69:70], v[30:31], s[34:35], v[62:63]
	v_add_f64 v[34:35], v[34:35], v[60:61]
	v_fma_f64 v[60:61], v[30:31], s[10:11], v[62:63]
	v_mul_f64 v[62:63], v[28:29], s[20:21]
	v_add_f64 v[69:70], v[69:70], v[75:76]
	v_add_f64 v[60:61], v[60:61], v[73:74]
	v_fma_f64 v[71:72], v[24:25], s[18:19], v[62:63]
	v_fma_f64 v[62:63], v[24:25], s[18:19], -v[62:63]
	v_mul_f64 v[73:74], v[26:27], s[18:19]
	v_add_f64 v[71:72], v[71:72], v[79:80]
	v_add_f64 v[62:63], v[62:63], v[77:78]
	v_mul_f64 v[77:78], v[28:29], s[30:31]
	v_fma_f64 v[75:76], v[30:31], s[36:37], v[73:74]
	v_fma_f64 v[73:74], v[30:31], s[20:21], v[73:74]
	v_fma_f64 v[79:80], v[24:25], s[22:23], v[77:78]
	v_fma_f64 v[77:78], v[24:25], s[22:23], -v[77:78]
	v_add_f64 v[73:74], v[73:74], v[81:82]
	v_mul_f64 v[81:82], v[26:27], s[22:23]
	v_add_f64 v[75:76], v[75:76], v[83:84]
	v_add_f64 v[79:80], v[79:80], v[100:101]
	;; [unrolled: 1-line block ×3, first 2 shown]
	v_mul_f64 v[85:86], v[28:29], s[28:29]
	v_fma_f64 v[83:84], v[30:31], s[26:27], v[81:82]
	v_fma_f64 v[81:82], v[30:31], s[30:31], v[81:82]
	v_mul_f64 v[28:29], v[28:29], s[24:25]
	v_fma_f64 v[100:101], v[24:25], s[14:15], v[85:86]
	v_fma_f64 v[85:86], v[24:25], s[14:15], -v[85:86]
	v_add_f64 v[81:82], v[81:82], v[102:103]
	v_mul_f64 v[102:103], v[26:27], s[14:15]
	v_mul_f64 v[26:27], v[26:27], s[0:1]
	v_add_f64 v[83:84], v[83:84], v[104:105]
	v_add_f64 v[100:101], v[100:101], v[108:109]
	;; [unrolled: 1-line block ×3, first 2 shown]
	v_fma_f64 v[106:107], v[24:25], s[0:1], v[28:29]
	v_fma_f64 v[24:25], v[24:25], s[0:1], -v[28:29]
	v_fma_f64 v[104:105], v[30:31], s[16:17], v[102:103]
	v_fma_f64 v[102:103], v[30:31], s[28:29], v[102:103]
	;; [unrolled: 1-line block ×3, first 2 shown]
	v_add_f64 v[28:29], v[56:57], -v[38:39]
	v_add_f64 v[106:107], v[106:107], v[114:115]
	v_add_f64 v[20:21], v[24:25], v[20:21]
	v_fma_f64 v[24:25], v[30:31], s[24:25], v[26:27]
	v_add_f64 v[30:31], v[54:55], -v[32:33]
	v_add_f64 v[26:27], v[54:55], v[32:33]
	v_add_f64 v[104:105], v[104:105], v[112:113]
	;; [unrolled: 1-line block ×6, first 2 shown]
	v_mul_f64 v[32:33], v[30:31], s[16:17]
	v_mul_f64 v[54:55], v[26:27], s[14:15]
	v_fma_f64 v[38:39], v[24:25], s[14:15], v[32:33]
	v_fma_f64 v[32:33], v[24:25], s[14:15], -v[32:33]
	v_fma_f64 v[56:57], v[28:29], s[28:29], v[54:55]
	v_add_f64 v[38:39], v[38:39], v[58:59]
	v_add_f64 v[32:33], v[32:33], v[34:35]
	v_fma_f64 v[34:35], v[28:29], s[16:17], v[54:55]
	v_mul_f64 v[54:55], v[30:31], s[30:31]
	v_add_f64 v[56:57], v[56:57], v[69:70]
	v_add_f64 v[34:35], v[34:35], v[60:61]
	v_fma_f64 v[58:59], v[24:25], s[22:23], v[54:55]
	v_fma_f64 v[54:55], v[24:25], s[22:23], -v[54:55]
	v_mul_f64 v[60:61], v[26:27], s[22:23]
	v_add_f64 v[58:59], v[58:59], v[71:72]
	v_add_f64 v[54:55], v[54:55], v[62:63]
	v_mul_f64 v[62:63], v[30:31], s[34:35]
	v_fma_f64 v[69:70], v[28:29], s[26:27], v[60:61]
	v_fma_f64 v[60:61], v[28:29], s[30:31], v[60:61]
	v_fma_f64 v[71:72], v[24:25], s[8:9], v[62:63]
	v_fma_f64 v[62:63], v[24:25], s[8:9], -v[62:63]
	v_add_f64 v[60:61], v[60:61], v[73:74]
	v_mul_f64 v[73:74], v[26:27], s[8:9]
	v_add_f64 v[69:70], v[69:70], v[75:76]
	v_add_f64 v[71:72], v[71:72], v[79:80]
	;; [unrolled: 1-line block ×3, first 2 shown]
	v_mul_f64 v[77:78], v[30:31], s[2:3]
	v_fma_f64 v[75:76], v[28:29], s[10:11], v[73:74]
	v_fma_f64 v[73:74], v[28:29], s[34:35], v[73:74]
	v_mul_f64 v[30:31], v[30:31], s[20:21]
	v_fma_f64 v[79:80], v[24:25], s[0:1], v[77:78]
	v_fma_f64 v[77:78], v[24:25], s[0:1], -v[77:78]
	v_add_f64 v[73:74], v[73:74], v[81:82]
	v_mul_f64 v[81:82], v[26:27], s[0:1]
	v_mul_f64 v[26:27], v[26:27], s[18:19]
	v_add_f64 v[75:76], v[75:76], v[83:84]
	v_add_f64 v[79:80], v[79:80], v[100:101]
	;; [unrolled: 1-line block ×3, first 2 shown]
	v_fma_f64 v[85:86], v[24:25], s[18:19], v[30:31]
	v_fma_f64 v[24:25], v[24:25], s[18:19], -v[30:31]
	v_add_f64 v[30:31], v[50:51], -v[36:37]
	v_fma_f64 v[100:101], v[28:29], s[36:37], v[26:27]
	v_fma_f64 v[83:84], v[28:29], s[24:25], v[81:82]
	v_fma_f64 v[81:82], v[28:29], s[2:3], v[81:82]
	v_add_f64 v[85:86], v[85:86], v[106:107]
	v_add_f64 v[20:21], v[24:25], v[20:21]
	v_fma_f64 v[24:25], v[28:29], s[20:21], v[26:27]
	v_add_f64 v[26:27], v[50:51], v[36:37]
	v_mul_f64 v[36:37], v[30:31], s[20:21]
	v_add_f64 v[28:29], v[52:53], -v[42:43]
	v_add_f64 v[83:84], v[83:84], v[104:105]
	v_add_f64 v[81:82], v[81:82], v[102:103]
	;; [unrolled: 1-line block ×3, first 2 shown]
	v_add_f64 v[104:105], v[44:45], -v[40:41]
	v_add_f64 v[22:23], v[24:25], v[22:23]
	v_add_f64 v[24:25], v[52:53], v[42:43]
	v_mul_f64 v[52:53], v[26:27], s[14:15]
	v_add_f64 v[102:103], v[48:49], -v[46:47]
	v_fma_f64 v[42:43], v[24:25], s[18:19], v[36:37]
	v_fma_f64 v[36:37], v[24:25], s[18:19], -v[36:37]
	v_add_f64 v[38:39], v[42:43], v[38:39]
	v_mul_f64 v[42:43], v[26:27], s[18:19]
	v_add_f64 v[32:33], v[36:37], v[32:33]
	v_fma_f64 v[36:37], v[28:29], s[20:21], v[42:43]
	v_fma_f64 v[50:51], v[28:29], s[36:37], v[42:43]
	v_add_f64 v[34:35], v[36:37], v[34:35]
	v_mul_f64 v[36:37], v[30:31], s[28:29]
	v_add_f64 v[50:51], v[50:51], v[56:57]
	v_fma_f64 v[56:57], v[28:29], s[16:17], v[52:53]
	v_fma_f64 v[52:53], v[28:29], s[28:29], v[52:53]
	;; [unrolled: 1-line block ×3, first 2 shown]
	v_fma_f64 v[36:37], v[24:25], s[14:15], -v[36:37]
	v_add_f64 v[56:57], v[56:57], v[69:70]
	v_add_f64 v[52:53], v[52:53], v[60:61]
	v_mul_f64 v[60:61], v[26:27], s[0:1]
	v_add_f64 v[42:43], v[42:43], v[58:59]
	v_add_f64 v[36:37], v[36:37], v[54:55]
	v_mul_f64 v[54:55], v[30:31], s[2:3]
	v_fma_f64 v[69:70], v[28:29], s[24:25], v[60:61]
	v_fma_f64 v[60:61], v[28:29], s[2:3], v[60:61]
	;; [unrolled: 1-line block ×3, first 2 shown]
	v_fma_f64 v[54:55], v[24:25], s[0:1], -v[54:55]
	v_add_f64 v[69:70], v[69:70], v[75:76]
	v_add_f64 v[60:61], v[60:61], v[73:74]
	v_mul_f64 v[73:74], v[26:27], s[22:23]
	v_mul_f64 v[26:27], v[26:27], s[8:9]
	v_add_f64 v[58:59], v[58:59], v[71:72]
	v_add_f64 v[54:55], v[54:55], v[62:63]
	v_mul_f64 v[62:63], v[30:31], s[26:27]
	v_mul_f64 v[30:31], v[30:31], s[34:35]
	v_fma_f64 v[75:76], v[28:29], s[30:31], v[73:74]
	v_fma_f64 v[73:74], v[28:29], s[26:27], v[73:74]
	;; [unrolled: 1-line block ×3, first 2 shown]
	v_fma_f64 v[62:63], v[24:25], s[22:23], -v[62:63]
	v_add_f64 v[75:76], v[75:76], v[83:84]
	v_add_f64 v[73:74], v[73:74], v[81:82]
	v_add_f64 v[71:72], v[71:72], v[79:80]
	v_add_f64 v[62:63], v[62:63], v[77:78]
	v_fma_f64 v[77:78], v[24:25], s[8:9], v[30:31]
	v_fma_f64 v[79:80], v[28:29], s[10:11], v[26:27]
	v_fma_f64 v[24:25], v[24:25], s[8:9], -v[30:31]
	v_add_f64 v[77:78], v[77:78], v[85:86]
	v_add_f64 v[79:80], v[79:80], v[100:101]
	;; [unrolled: 1-line block ×3, first 2 shown]
	v_fma_f64 v[20:21], v[28:29], s[34:35], v[26:27]
	v_add_f64 v[85:86], v[48:49], v[46:47]
	v_add_f64 v[100:101], v[44:45], v[40:41]
	v_mul_f64 v[24:25], v[104:105], s[26:27]
	v_mul_f64 v[40:41], v[104:105], s[20:21]
	;; [unrolled: 1-line block ×3, first 2 shown]
	v_add_f64 v[83:84], v[20:21], v[22:23]
	v_mul_f64 v[26:27], v[100:101], s[22:23]
	v_fma_f64 v[20:21], v[85:86], s[22:23], v[24:25]
	v_fma_f64 v[24:25], v[85:86], s[22:23], -v[24:25]
	v_fma_f64 v[44:45], v[85:86], s[8:9], v[48:49]
	v_fma_f64 v[48:49], v[85:86], s[8:9], -v[48:49]
	v_fma_f64 v[22:23], v[102:103], s[30:31], v[26:27]
	v_fma_f64 v[26:27], v[102:103], s[26:27], v[26:27]
	v_add_f64 v[24:25], v[24:25], v[32:33]
	v_mul_f64 v[32:33], v[104:105], s[24:25]
	v_add_f64 v[20:21], v[20:21], v[38:39]
	v_add_f64 v[44:45], v[44:45], v[71:72]
	;; [unrolled: 1-line block ×5, first 2 shown]
	v_mul_f64 v[34:35], v[100:101], s[0:1]
	v_fma_f64 v[28:29], v[85:86], s[0:1], v[32:33]
	v_fma_f64 v[32:33], v[85:86], s[0:1], -v[32:33]
	v_mul_f64 v[50:51], v[100:101], s[8:9]
	v_fma_f64 v[30:31], v[102:103], s[2:3], v[34:35]
	v_add_f64 v[28:29], v[28:29], v[42:43]
	v_add_f64 v[32:33], v[32:33], v[36:37]
	v_fma_f64 v[36:37], v[85:86], s[18:19], v[40:41]
	v_mul_f64 v[42:43], v[100:101], s[18:19]
	v_fma_f64 v[34:35], v[102:103], s[24:25], v[34:35]
	v_fma_f64 v[40:41], v[85:86], s[18:19], -v[40:41]
	v_fma_f64 v[46:47], v[102:103], s[10:11], v[50:51]
	v_add_f64 v[30:31], v[30:31], v[56:57]
	v_mul_f64 v[56:57], v[104:105], s[16:17]
	v_fma_f64 v[50:51], v[102:103], s[34:35], v[50:51]
	v_add_f64 v[36:37], v[36:37], v[58:59]
	v_mul_f64 v[58:59], v[100:101], s[14:15]
	v_fma_f64 v[38:39], v[102:103], s[36:37], v[42:43]
	v_add_f64 v[34:35], v[34:35], v[52:53]
	v_add_f64 v[40:41], v[40:41], v[54:55]
	v_fma_f64 v[42:43], v[102:103], s[20:21], v[42:43]
	v_fma_f64 v[52:53], v[85:86], s[14:15], v[56:57]
	v_fma_f64 v[56:57], v[85:86], s[14:15], -v[56:57]
	v_add_f64 v[46:47], v[46:47], v[75:76]
	v_fma_f64 v[54:55], v[102:103], s[28:29], v[58:59]
	v_fma_f64 v[58:59], v[102:103], s[16:17], v[58:59]
	v_add_f64 v[38:39], v[38:39], v[69:70]
	v_add_f64 v[50:51], v[50:51], v[73:74]
	;; [unrolled: 1-line block ×7, first 2 shown]
	ds_write_b128 v68, v[96:99]
	ds_write_b128 v68, v[20:23] offset:32
	ds_write_b128 v68, v[28:31] offset:64
	ds_write_b128 v68, v[36:39] offset:96
	ds_write_b128 v68, v[44:47] offset:128
	ds_write_b128 v68, v[52:55] offset:160
	ds_write_b128 v68, v[56:59] offset:192
	ds_write_b128 v68, v[48:51] offset:224
	ds_write_b128 v68, v[40:43] offset:256
	ds_write_b128 v68, v[32:35] offset:288
	ds_write_b128 v68, v[24:27] offset:320
	s_and_saveexec_b64 s[36:37], vcc
	s_cbranch_execz .LBB0_9
; %bb.8:
	buffer_load_dword v28, off, s[40:43], 0 offset:380 ; 4-byte Folded Reload
	buffer_load_dword v29, off, s[40:43], 0 offset:384 ; 4-byte Folded Reload
	;; [unrolled: 1-line block ×4, first 2 shown]
	v_mul_f64 v[20:21], v[94:95], v[2:3]
	v_fma_f64 v[26:27], v[92:93], v[0:1], v[20:21]
	v_mul_f64 v[0:1], v[94:95], v[0:1]
	v_fma_f64 v[38:39], v[92:93], v[2:3], -v[0:1]
	s_waitcnt vmcnt(0)
	v_mul_f64 v[20:21], v[30:31], v[6:7]
	v_mul_f64 v[0:1], v[30:31], v[4:5]
	buffer_load_dword v30, off, s[40:43], 0 offset:332 ; 4-byte Folded Reload
	buffer_load_dword v31, off, s[40:43], 0 offset:336 ; 4-byte Folded Reload
	;; [unrolled: 1-line block ×8, first 2 shown]
	v_fma_f64 v[24:25], v[28:29], v[4:5], v[20:21]
	buffer_store_dword v87, off, s[40:43], 0 offset:232 ; 4-byte Folded Spill
	buffer_load_dword v50, off, s[40:43], 0 offset:300 ; 4-byte Folded Reload
	buffer_load_dword v51, off, s[40:43], 0 offset:304 ; 4-byte Folded Reload
	;; [unrolled: 1-line block ×16, first 2 shown]
	v_fma_f64 v[40:41], v[28:29], v[6:7], -v[0:1]
	v_add_f64 v[96:97], v[26:27], -v[24:25]
	v_add_f64 v[84:85], v[38:39], v[40:41]
	v_add_f64 v[102:103], v[38:39], -v[40:41]
	v_mul_f64 v[20:21], v[96:97], s[16:17]
	v_fma_f64 v[0:1], v[84:85], s[14:15], v[20:21]
	s_waitcnt vmcnt(21)
	v_mul_f64 v[2:3], v[32:33], v[250:251]
	s_waitcnt vmcnt(12)
	v_mul_f64 v[6:7], v[52:53], v[242:243]
	v_fma_f64 v[34:35], v[30:31], v[248:249], v[2:3]
	v_mul_f64 v[2:3], v[44:45], v[254:255]
	v_mul_f64 v[22:23], v[52:53], v[240:241]
	v_fma_f64 v[28:29], v[42:43], v[252:253], v[2:3]
	v_mul_f64 v[2:3], v[32:33], v[248:249]
	v_fma_f64 v[52:53], v[50:51], v[242:243], -v[22:23]
	s_waitcnt vmcnt(8)
	v_mul_f64 v[22:23], v[56:57], v[244:245]
	v_add_f64 v[86:87], v[34:35], -v[28:29]
	v_fma_f64 v[46:47], v[30:31], v[250:251], -v[2:3]
	s_waitcnt vmcnt(4)
	v_mul_f64 v[30:31], v[60:61], v[18:19]
	v_mul_f64 v[2:3], v[44:45], v[252:253]
	;; [unrolled: 1-line block ×3, first 2 shown]
	v_fma_f64 v[44:45], v[58:59], v[16:17], v[30:31]
	v_mul_f64 v[16:17], v[60:61], v[16:17]
	v_fma_f64 v[48:49], v[42:43], v[254:255], -v[2:3]
	v_fma_f64 v[42:43], v[50:51], v[240:241], v[6:7]
	v_mul_f64 v[6:7], v[56:57], v[246:247]
	s_waitcnt vmcnt(0)
	v_mul_f64 v[30:31], v[70:71], v[238:239]
	v_fma_f64 v[50:51], v[54:55], v[246:247], -v[22:23]
	v_mov_b32_e32 v241, v88
	v_fma_f64 v[72:73], v[58:59], v[18:19], -v[16:17]
	v_mul_f64 v[16:17], v[70:71], v[236:237]
	buffer_load_dword v58, off, s[40:43], 0 offset:268 ; 4-byte Folded Reload
	buffer_load_dword v59, off, s[40:43], 0 offset:272 ; 4-byte Folded Reload
	buffer_load_dword v60, off, s[40:43], 0 offset:276 ; 4-byte Folded Reload
	buffer_load_dword v61, off, s[40:43], 0 offset:280 ; 4-byte Folded Reload
	v_fma_f64 v[32:33], v[54:55], v[244:245], v[6:7]
	v_fma_f64 v[30:31], v[68:69], v[236:237], v[30:31]
	v_add_f64 v[78:79], v[52:53], v[50:51]
	v_add_f64 v[106:107], v[52:53], -v[50:51]
	v_add_f64 v[80:81], v[46:47], v[48:49]
	v_add_f64 v[104:105], v[46:47], -v[48:49]
	v_fma_f64 v[54:55], v[68:69], v[238:239], -v[16:17]
	buffer_load_dword v68, off, s[40:43], 0 offset:316 ; 4-byte Folded Reload
	buffer_load_dword v69, off, s[40:43], 0 offset:320 ; 4-byte Folded Reload
	;; [unrolled: 1-line block ×4, first 2 shown]
	v_add_f64 v[92:93], v[42:43], -v[32:33]
	v_add_f64 v[94:95], v[44:45], -v[30:31]
	v_add_f64 v[98:99], v[44:45], v[30:31]
	v_add_f64 v[90:91], v[42:43], v[32:33]
	v_fma_f64 v[2:3], v[80:81], s[8:9], v[4:5]
	v_fma_f64 v[4:5], v[80:81], s[8:9], -v[4:5]
	v_add_f64 v[82:83], v[72:73], v[54:55]
	v_add_f64 v[108:109], v[72:73], -v[54:55]
	v_mul_f64 v[6:7], v[92:93], s[20:21]
	v_mul_f64 v[56:57], v[94:95], s[24:25]
	;; [unrolled: 1-line block ×3, first 2 shown]
	v_fma_f64 v[22:23], v[78:79], s[18:19], v[6:7]
	v_fma_f64 v[16:17], v[82:83], s[0:1], v[56:57]
	v_fma_f64 v[6:7], v[78:79], s[18:19], -v[6:7]
	v_mul_f64 v[124:125], v[108:109], s[30:31]
	v_mul_f64 v[132:133], v[108:109], s[20:21]
	v_fma_f64 v[118:119], v[98:99], s[14:15], -v[116:117]
	v_fma_f64 v[126:127], v[98:99], s[22:23], -v[124:125]
	;; [unrolled: 1-line block ×3, first 2 shown]
	s_waitcnt vmcnt(4)
	v_mul_f64 v[18:19], v[60:61], v[14:15]
	v_fma_f64 v[74:75], v[58:59], v[12:13], v[18:19]
	s_waitcnt vmcnt(0)
	v_mul_f64 v[18:19], v[70:71], v[66:67]
	v_mul_f64 v[12:13], v[60:61], v[12:13]
	;; [unrolled: 1-line block ×4, first 2 shown]
	v_fma_f64 v[36:37], v[68:69], v[64:65], v[18:19]
	v_fma_f64 v[76:77], v[58:59], v[14:15], -v[12:13]
	v_mul_f64 v[12:13], v[70:71], v[64:65]
	v_fma_f64 v[62:63], v[98:99], s[0:1], -v[60:61]
	v_add_f64 v[70:71], v[34:35], v[28:29]
	v_mul_f64 v[14:15], v[104:105], s[34:35]
	v_add_f64 v[88:89], v[74:75], -v[36:37]
	v_add_f64 v[100:101], v[74:75], v[36:37]
	v_fma_f64 v[64:65], v[68:69], v[66:67], -v[12:13]
	v_add_f64 v[68:69], v[26:27], v[24:25]
	v_mul_f64 v[18:19], v[88:89], s[26:27]
	v_add_f64 v[66:67], v[76:77], v[64:65]
	v_add_f64 v[110:111], v[76:77], -v[64:65]
	v_fma_f64 v[12:13], v[66:67], s[22:23], v[18:19]
	v_mul_f64 v[112:113], v[110:111], s[26:27]
	v_fma_f64 v[18:19], v[66:67], s[22:23], -v[18:19]
	v_mul_f64 v[120:121], v[110:111], s[20:21]
	v_mul_f64 v[128:129], v[110:111], s[16:17]
	;; [unrolled: 1-line block ×4, first 2 shown]
	v_add_f64 v[12:13], v[10:11], v[12:13]
	v_fma_f64 v[114:115], v[100:101], s[22:23], -v[112:113]
	v_add_f64 v[18:19], v[10:11], v[18:19]
	v_fma_f64 v[122:123], v[100:101], s[18:19], -v[120:121]
	v_fma_f64 v[130:131], v[100:101], s[14:15], -v[128:129]
	v_fma_f64 v[238:239], v[100:101], s[8:9], -v[236:237]
	v_add_f64 v[12:13], v[16:17], v[12:13]
	v_add_f64 v[114:115], v[8:9], v[114:115]
	v_fma_f64 v[16:17], v[70:71], s[8:9], -v[14:15]
	v_add_f64 v[122:123], v[8:9], v[122:123]
	v_add_f64 v[130:131], v[8:9], v[130:131]
	;; [unrolled: 1-line block ×4, first 2 shown]
	v_mul_f64 v[22:23], v[106:107], s[20:21]
	v_add_f64 v[62:63], v[62:63], v[114:115]
	v_add_f64 v[118:119], v[118:119], v[122:123]
	;; [unrolled: 1-line block ×5, first 2 shown]
	v_fma_f64 v[58:59], v[90:91], s[18:19], -v[22:23]
	v_mul_f64 v[12:13], v[102:103], s[16:17]
	v_add_f64 v[2:3], v[0:1], v[2:3]
	v_add_f64 v[58:59], v[58:59], v[62:63]
	v_fma_f64 v[0:1], v[68:69], s[14:15], -v[12:13]
	v_add_f64 v[16:17], v[16:17], v[58:59]
	v_add_f64 v[0:1], v[0:1], v[16:17]
	v_fma_f64 v[16:17], v[84:85], s[14:15], -v[20:21]
	v_fma_f64 v[20:21], v[82:83], s[0:1], -v[56:57]
	v_mul_f64 v[56:57], v[94:95], s[28:29]
	v_add_f64 v[18:19], v[20:21], v[18:19]
	v_mul_f64 v[20:21], v[92:93], s[2:3]
	v_fma_f64 v[58:59], v[82:83], s[14:15], v[56:57]
	v_fma_f64 v[56:57], v[82:83], s[14:15], -v[56:57]
	v_add_f64 v[6:7], v[6:7], v[18:19]
	v_fma_f64 v[18:19], v[100:101], s[22:23], v[112:113]
	v_mul_f64 v[112:113], v[106:107], s[2:3]
	v_add_f64 v[4:5], v[4:5], v[6:7]
	v_add_f64 v[18:19], v[8:9], v[18:19]
	v_fma_f64 v[114:115], v[90:91], s[0:1], -v[112:113]
	v_add_f64 v[6:7], v[16:17], v[4:5]
	v_fma_f64 v[16:17], v[98:99], s[0:1], v[60:61]
	v_mul_f64 v[60:61], v[88:89], s[20:21]
	v_fma_f64 v[4:5], v[68:69], s[14:15], v[12:13]
	v_fma_f64 v[12:13], v[70:71], s[8:9], v[14:15]
	;; [unrolled: 1-line block ×4, first 2 shown]
	v_fma_f64 v[20:21], v[78:79], s[0:1], -v[20:21]
	v_add_f64 v[114:115], v[114:115], v[118:119]
	v_add_f64 v[16:17], v[16:17], v[18:19]
	v_fma_f64 v[62:63], v[66:67], s[18:19], v[60:61]
	v_fma_f64 v[60:61], v[66:67], s[18:19], -v[60:61]
	v_mul_f64 v[18:19], v[86:87], s[26:27]
	v_add_f64 v[14:15], v[14:15], v[16:17]
	v_add_f64 v[62:63], v[10:11], v[62:63]
	;; [unrolled: 1-line block ×3, first 2 shown]
	v_mul_f64 v[16:17], v[96:97], s[34:35]
	v_add_f64 v[12:13], v[12:13], v[14:15]
	v_add_f64 v[58:59], v[58:59], v[62:63]
	;; [unrolled: 1-line block ×3, first 2 shown]
	v_fma_f64 v[14:15], v[80:81], s[22:23], v[18:19]
	v_fma_f64 v[18:19], v[80:81], s[22:23], -v[18:19]
	v_mul_f64 v[60:61], v[86:87], s[2:3]
	v_add_f64 v[4:5], v[4:5], v[12:13]
	v_add_f64 v[22:23], v[22:23], v[58:59]
	v_mul_f64 v[58:59], v[104:105], s[26:27]
	v_add_f64 v[20:21], v[20:21], v[56:57]
	v_fma_f64 v[12:13], v[84:85], s[8:9], v[16:17]
	v_fma_f64 v[16:17], v[84:85], s[8:9], -v[16:17]
	v_fma_f64 v[56:57], v[98:99], s[14:15], v[116:117]
	v_mul_f64 v[116:117], v[88:89], s[16:17]
	v_add_f64 v[14:15], v[14:15], v[22:23]
	v_fma_f64 v[62:63], v[70:71], s[22:23], -v[58:59]
	v_add_f64 v[18:19], v[18:19], v[20:21]
	v_fma_f64 v[20:21], v[70:71], s[22:23], v[58:59]
	v_fma_f64 v[58:59], v[100:101], s[18:19], v[120:121]
	v_mul_f64 v[22:23], v[102:103], s[34:35]
	v_fma_f64 v[118:119], v[66:67], s[14:15], v[116:117]
	v_mul_f64 v[120:121], v[106:107], s[34:35]
	v_add_f64 v[14:15], v[12:13], v[14:15]
	v_add_f64 v[62:63], v[62:63], v[114:115]
	;; [unrolled: 1-line block ×4, first 2 shown]
	v_fma_f64 v[12:13], v[68:69], s[8:9], -v[22:23]
	v_fma_f64 v[16:17], v[68:69], s[8:9], v[22:23]
	v_fma_f64 v[22:23], v[90:91], s[0:1], v[112:113]
	v_mul_f64 v[112:113], v[94:95], s[30:31]
	v_add_f64 v[118:119], v[10:11], v[118:119]
	v_fma_f64 v[122:123], v[90:91], s[8:9], -v[120:121]
	v_add_f64 v[56:57], v[56:57], v[58:59]
	v_add_f64 v[12:13], v[12:13], v[62:63]
	v_mul_f64 v[62:63], v[92:93], s[34:35]
	v_fma_f64 v[114:115], v[82:83], s[22:23], v[112:113]
	v_add_f64 v[122:123], v[122:123], v[126:127]
	v_add_f64 v[22:23], v[22:23], v[56:57]
	v_fma_f64 v[56:57], v[80:81], s[0:1], v[60:61]
	v_fma_f64 v[58:59], v[78:79], s[8:9], v[62:63]
	v_add_f64 v[114:115], v[114:115], v[118:119]
	v_mul_f64 v[118:119], v[104:105], s[2:3]
	v_add_f64 v[20:21], v[20:21], v[22:23]
	v_add_f64 v[58:59], v[58:59], v[114:115]
	v_mul_f64 v[114:115], v[102:103], s[20:21]
	v_add_f64 v[16:17], v[16:17], v[20:21]
	v_mul_f64 v[20:21], v[96:97], s[20:21]
	v_add_f64 v[56:57], v[56:57], v[58:59]
	v_fma_f64 v[22:23], v[84:85], s[18:19], v[20:21]
	v_fma_f64 v[20:21], v[84:85], s[18:19], -v[20:21]
	v_add_f64 v[58:59], v[22:23], v[56:57]
	v_fma_f64 v[56:57], v[70:71], s[0:1], -v[118:119]
	v_fma_f64 v[22:23], v[68:69], s[18:19], -v[114:115]
	v_add_f64 v[56:57], v[56:57], v[122:123]
	v_add_f64 v[56:57], v[22:23], v[56:57]
	v_fma_f64 v[22:23], v[80:81], s[0:1], -v[60:61]
	v_fma_f64 v[60:61], v[78:79], s[8:9], -v[62:63]
	;; [unrolled: 1-line block ×4, first 2 shown]
	v_mul_f64 v[116:117], v[92:93], s[30:31]
	v_mul_f64 v[92:93], v[92:93], s[16:17]
	v_add_f64 v[112:113], v[10:11], v[112:113]
	v_add_f64 v[62:63], v[62:63], v[112:113]
	v_fma_f64 v[112:113], v[98:99], s[22:23], v[124:125]
	v_mul_f64 v[124:125], v[88:89], s[10:11]
	v_add_f64 v[60:61], v[60:61], v[62:63]
	v_fma_f64 v[62:63], v[90:91], s[8:9], v[120:121]
	v_mul_f64 v[120:121], v[94:95], s[20:21]
	v_fma_f64 v[126:127], v[66:67], s[8:9], v[124:125]
	v_fma_f64 v[124:125], v[66:67], s[8:9], -v[124:125]
	v_mul_f64 v[94:95], v[94:95], s[10:11]
	v_add_f64 v[22:23], v[22:23], v[60:61]
	v_fma_f64 v[60:61], v[70:71], s[0:1], v[118:119]
	v_fma_f64 v[122:123], v[82:83], s[18:19], v[120:121]
	v_add_f64 v[126:127], v[10:11], v[126:127]
	v_fma_f64 v[120:121], v[82:83], s[18:19], -v[120:121]
	v_add_f64 v[124:125], v[10:11], v[124:125]
	v_fma_f64 v[118:119], v[78:79], s[22:23], v[116:117]
	v_fma_f64 v[116:117], v[78:79], s[22:23], -v[116:117]
	v_add_f64 v[22:23], v[20:21], v[22:23]
	v_fma_f64 v[20:21], v[68:69], s[18:19], v[114:115]
	v_fma_f64 v[114:115], v[100:101], s[14:15], v[128:129]
	v_add_f64 v[122:123], v[122:123], v[126:127]
	v_mul_f64 v[128:129], v[106:107], s[30:31]
	v_add_f64 v[120:121], v[120:121], v[124:125]
	v_mul_f64 v[124:125], v[88:89], s[2:3]
	v_mul_f64 v[106:107], v[106:107], s[16:17]
	v_add_f64 v[114:115], v[8:9], v[114:115]
	v_add_f64 v[118:119], v[118:119], v[122:123]
	v_mul_f64 v[122:123], v[104:105], s[28:29]
	v_add_f64 v[116:117], v[116:117], v[120:121]
	v_fma_f64 v[130:131], v[90:91], s[22:23], -v[128:129]
	v_fma_f64 v[120:121], v[98:99], s[18:19], v[132:133]
	v_fma_f64 v[88:89], v[66:67], s[0:1], v[124:125]
	v_fma_f64 v[66:67], v[66:67], s[0:1], -v[124:125]
	v_add_f64 v[112:113], v[112:113], v[114:115]
	v_mul_f64 v[114:115], v[86:87], s[28:29]
	v_fma_f64 v[126:127], v[70:71], s[14:15], -v[122:123]
	v_mul_f64 v[104:105], v[104:105], s[20:21]
	v_add_f64 v[130:131], v[130:131], v[134:135]
	v_add_f64 v[88:89], v[10:11], v[88:89]
	;; [unrolled: 1-line block ×4, first 2 shown]
	v_mul_f64 v[112:113], v[96:97], s[24:25]
	v_add_f64 v[10:11], v[10:11], v[76:77]
	v_mul_f64 v[96:97], v[96:97], s[26:27]
	v_add_f64 v[126:127], v[126:127], v[130:131]
	v_add_f64 v[60:61], v[60:61], v[62:63]
	v_fma_f64 v[62:63], v[80:81], s[14:15], v[114:115]
	v_fma_f64 v[114:115], v[80:81], s[14:15], -v[114:115]
	v_add_f64 v[10:11], v[10:11], v[72:73]
	v_add_f64 v[20:21], v[20:21], v[60:61]
	v_fma_f64 v[60:61], v[84:85], s[0:1], v[112:113]
	v_add_f64 v[114:115], v[114:115], v[116:117]
	v_fma_f64 v[116:117], v[70:71], s[14:15], v[122:123]
	v_fma_f64 v[122:123], v[100:101], s[8:9], v[236:237]
	v_add_f64 v[62:63], v[62:63], v[118:119]
	v_mul_f64 v[118:119], v[102:103], s[24:25]
	v_fma_f64 v[112:113], v[84:85], s[0:1], -v[112:113]
	v_add_f64 v[10:11], v[10:11], v[52:53]
	v_mul_f64 v[102:103], v[102:103], s[26:27]
	v_add_f64 v[122:123], v[8:9], v[122:123]
	v_add_f64 v[62:63], v[60:61], v[62:63]
	v_fma_f64 v[60:61], v[68:69], s[0:1], -v[118:119]
	v_add_f64 v[114:115], v[112:113], v[114:115]
	v_fma_f64 v[112:113], v[68:69], s[0:1], v[118:119]
	v_fma_f64 v[118:119], v[90:91], s[22:23], v[128:129]
	v_add_f64 v[10:11], v[10:11], v[46:47]
	v_add_f64 v[120:121], v[120:121], v[122:123]
	v_fma_f64 v[122:123], v[82:83], s[8:9], v[94:95]
	v_fma_f64 v[82:83], v[82:83], s[8:9], -v[94:95]
	v_add_f64 v[60:61], v[60:61], v[126:127]
	v_fma_f64 v[126:127], v[100:101], s[0:1], -v[110:111]
	v_add_f64 v[10:11], v[10:11], v[38:39]
	v_add_f64 v[118:119], v[118:119], v[120:121]
	v_fma_f64 v[120:121], v[78:79], s[14:15], v[92:93]
	v_add_f64 v[66:67], v[82:83], v[66:67]
	v_fma_f64 v[82:83], v[100:101], s[0:1], v[110:111]
	v_add_f64 v[126:127], v[8:9], v[126:127]
	v_add_f64 v[88:89], v[122:123], v[88:89]
	v_fma_f64 v[78:79], v[78:79], s[14:15], -v[92:93]
	v_add_f64 v[10:11], v[10:11], v[40:41]
	v_add_f64 v[116:117], v[116:117], v[118:119]
	v_mul_f64 v[118:119], v[86:87], s[20:21]
	v_fma_f64 v[122:123], v[98:99], s[8:9], -v[108:109]
	v_add_f64 v[82:83], v[8:9], v[82:83]
	v_add_f64 v[8:9], v[8:9], v[74:75]
	;; [unrolled: 1-line block ×4, first 2 shown]
	v_fma_f64 v[78:79], v[98:99], s[8:9], v[108:109]
	v_add_f64 v[112:113], v[112:113], v[116:117]
	v_fma_f64 v[86:87], v[80:81], s[18:19], v[118:119]
	v_fma_f64 v[80:81], v[80:81], s[18:19], -v[118:119]
	v_fma_f64 v[116:117], v[84:85], s[22:23], v[96:97]
	v_add_f64 v[8:9], v[8:9], v[44:45]
	v_fma_f64 v[84:85], v[84:85], s[22:23], -v[96:97]
	v_add_f64 v[10:11], v[10:11], v[48:49]
	v_add_f64 v[78:79], v[78:79], v[82:83]
	v_fma_f64 v[120:121], v[90:91], s[14:15], -v[106:107]
	v_add_f64 v[86:87], v[86:87], v[88:89]
	v_add_f64 v[66:67], v[80:81], v[66:67]
	;; [unrolled: 1-line block ×6, first 2 shown]
	v_fma_f64 v[86:87], v[68:69], s[22:23], -v[102:103]
	v_fma_f64 v[116:117], v[70:71], s[18:19], -v[104:105]
	v_add_f64 v[8:9], v[8:9], v[34:35]
	v_add_f64 v[80:81], v[84:85], v[66:67]
	v_fma_f64 v[66:67], v[68:69], s[22:23], v[102:103]
	v_fma_f64 v[68:69], v[70:71], s[18:19], v[104:105]
	;; [unrolled: 1-line block ×3, first 2 shown]
	v_add_f64 v[120:121], v[120:121], v[122:123]
	v_add_f64 v[10:11], v[10:11], v[54:55]
	;; [unrolled: 1-line block ×7, first 2 shown]
	buffer_load_dword v24, off, s[40:43], 0 offset:260 ; 4-byte Folded Reload
	buffer_load_dword v25, off, s[40:43], 0 offset:264 ; 4-byte Folded Reload
	v_add_f64 v[68:69], v[68:69], v[70:71]
	v_add_f64 v[86:87], v[86:87], v[116:117]
	;; [unrolled: 1-line block ×7, first 2 shown]
	s_waitcnt vmcnt(1)
	v_mul_u32_u24_e32 v24, 22, v24
	s_waitcnt vmcnt(0)
	v_or_b32_e32 v24, v24, v25
	buffer_load_dword v25, off, s[40:43], 0 offset:4 ; 4-byte Folded Reload
	s_waitcnt vmcnt(0)
	v_lshl_add_u32 v24, v24, 4, v25
	ds_write_b128 v24, v[8:11]
	ds_write_b128 v24, v[78:81] offset:32
	ds_write_b128 v24, v[112:115] offset:64
	;; [unrolled: 1-line block ×10, first 2 shown]
	buffer_load_dword v87, off, s[40:43], 0 offset:232 ; 4-byte Folded Reload
	v_mov_b32_e32 v88, v241
.LBB0_9:
	s_or_b64 exec, exec, s[36:37]
	s_waitcnt vmcnt(0) lgkmcnt(0)
	s_barrier
	ds_read_b128 v[2:5], v230
	ds_read_b128 v[6:9], v230 offset:1232
	ds_read_b128 v[10:13], v230 offset:2464
	;; [unrolled: 1-line block ×11, first 2 shown]
	s_waitcnt lgkmcnt(9)
	v_mul_f64 v[58:59], v[158:159], v[12:13]
	v_mul_f64 v[60:61], v[158:159], v[10:11]
	s_waitcnt lgkmcnt(7)
	v_mul_f64 v[62:63], v[154:155], v[20:21]
	v_mul_f64 v[64:65], v[154:155], v[18:19]
	;; [unrolled: 3-line block ×3, first 2 shown]
	ds_read_b128 v[50:53], v230 offset:14784
	ds_read_b128 v[54:57], v230 offset:16016
	v_mul_f64 v[70:71], v[178:179], v[16:17]
	v_fma_f64 v[10:11], v[156:157], v[10:11], v[58:59]
	v_fma_f64 v[12:13], v[156:157], v[12:13], -v[60:61]
	v_fma_f64 v[18:19], v[152:153], v[18:19], v[62:63]
	v_fma_f64 v[20:21], v[152:153], v[20:21], -v[64:65]
	;; [unrolled: 2-line block ×3, first 2 shown]
	s_waitcnt lgkmcnt(5)
	v_mul_f64 v[58:59], v[138:139], v[36:37]
	v_mul_f64 v[60:61], v[138:139], v[34:35]
	s_waitcnt lgkmcnt(3)
	v_mul_f64 v[62:63], v[162:163], v[44:45]
	v_mul_f64 v[64:65], v[162:163], v[42:43]
	;; [unrolled: 3-line block ×3, first 2 shown]
	v_mul_f64 v[72:73], v[178:179], v[14:15]
	v_mad_u64_u32 v[0:1], s[0:1], s6, v228, 0
	v_fma_f64 v[34:35], v[136:137], v[34:35], v[58:59]
	v_fma_f64 v[36:37], v[136:137], v[36:37], -v[60:61]
	v_fma_f64 v[42:43], v[160:161], v[42:43], v[62:63]
	v_fma_f64 v[44:45], v[160:161], v[44:45], -v[64:65]
	;; [unrolled: 2-line block ×4, first 2 shown]
	v_mul_f64 v[14:15], v[174:175], v[24:25]
	v_mul_f64 v[16:17], v[174:175], v[22:23]
	;; [unrolled: 1-line block ×8, first 2 shown]
	v_fma_f64 v[74:75], v[172:173], v[22:23], v[14:15]
	v_fma_f64 v[76:77], v[172:173], v[24:25], -v[16:17]
	v_add_f64 v[22:23], v[10:11], v[50:51]
	v_add_f64 v[24:25], v[12:13], v[52:53]
	v_add_f64 v[10:11], v[10:11], -v[50:51]
	v_add_f64 v[12:13], v[12:13], -v[52:53]
	v_add_f64 v[50:51], v[18:19], v[42:43]
	v_add_f64 v[52:53], v[20:21], v[44:45]
	v_add_f64 v[18:19], v[18:19], -v[42:43]
	v_add_f64 v[20:21], v[20:21], -v[44:45]
	;; [unrolled: 4-line block ×3, first 2 shown]
	v_add_f64 v[34:35], v[50:51], v[22:23]
	v_add_f64 v[36:37], v[52:53], v[24:25]
	v_fma_f64 v[30:31], v[168:169], v[30:31], v[62:63]
	v_fma_f64 v[32:33], v[168:169], v[32:33], -v[64:65]
	v_fma_f64 v[38:39], v[164:165], v[38:39], v[66:67]
	v_fma_f64 v[40:41], v[164:165], v[40:41], -v[68:69]
	;; [unrolled: 2-line block ×3, first 2 shown]
	v_add_f64 v[62:63], v[50:51], -v[22:23]
	v_add_f64 v[64:65], v[52:53], -v[24:25]
	;; [unrolled: 1-line block ×6, first 2 shown]
	v_add_f64 v[66:67], v[26:27], v[18:19]
	v_add_f64 v[68:69], v[28:29], v[20:21]
	v_add_f64 v[70:71], v[26:27], -v[18:19]
	v_add_f64 v[72:73], v[28:29], -v[20:21]
	v_add_f64 v[34:35], v[42:43], v[34:35]
	v_add_f64 v[36:37], v[44:45], v[36:37]
	v_add_f64 v[18:19], v[18:19], -v[10:11]
	v_add_f64 v[20:21], v[20:21], -v[12:13]
	s_mov_b32 s2, 0x37e14327
	s_mov_b32 s0, 0x36b3c0b5
	s_mov_b32 s10, 0xe976ee23
	s_mov_b32 s8, 0x429ad128
	s_mov_b32 s3, 0x3fe948f6
	s_mov_b32 s1, 0x3fac98ee
	s_mov_b32 s11, 0x3fe11646
	s_mov_b32 s9, 0xbfebfeb5
	v_add_f64 v[26:27], v[10:11], -v[26:27]
	v_add_f64 v[28:29], v[12:13], -v[28:29]
	v_add_f64 v[10:11], v[66:67], v[10:11]
	v_add_f64 v[12:13], v[68:69], v[12:13]
	;; [unrolled: 1-line block ×4, first 2 shown]
	v_mul_f64 v[22:23], v[22:23], s[2:3]
	v_mul_f64 v[24:25], v[24:25], s[2:3]
	;; [unrolled: 1-line block ×8, first 2 shown]
	s_mov_b32 s14, 0xaaaaaaaa
	s_mov_b32 s16, 0x5476071b
	;; [unrolled: 1-line block ×10, first 2 shown]
	s_waitcnt lgkmcnt(0)
	v_mul_f64 v[14:15], v[142:143], v[56:57]
	v_mul_f64 v[16:17], v[142:143], v[54:55]
	v_fma_f64 v[34:35], v[34:35], s[14:15], v[2:3]
	v_fma_f64 v[36:37], v[36:37], s[14:15], v[4:5]
	;; [unrolled: 1-line block ×4, first 2 shown]
	v_fma_f64 v[42:43], v[62:63], s[16:17], -v[42:43]
	v_fma_f64 v[44:45], v[64:65], s[16:17], -v[44:45]
	;; [unrolled: 1-line block ×4, first 2 shown]
	v_fma_f64 v[62:63], v[26:27], s[20:21], v[66:67]
	v_fma_f64 v[64:65], v[28:29], s[20:21], v[68:69]
	v_fma_f64 v[18:19], v[18:19], s[8:9], -v[66:67]
	v_fma_f64 v[20:21], v[20:21], s[8:9], -v[68:69]
	;; [unrolled: 1-line block ×4, first 2 shown]
	s_mov_b32 s22, 0x37c3f68c
	s_mov_b32 s23, 0xbfdc38aa
	v_add_f64 v[50:51], v[50:51], v[34:35]
	v_add_f64 v[52:53], v[52:53], v[36:37]
	;; [unrolled: 1-line block ×6, first 2 shown]
	v_fma_f64 v[28:29], v[12:13], s[22:23], v[28:29]
	v_fma_f64 v[66:67], v[10:11], s[22:23], v[26:27]
	;; [unrolled: 1-line block ×5, first 2 shown]
	v_fma_f64 v[56:57], v[140:141], v[56:57], -v[16:17]
	v_fma_f64 v[64:65], v[12:13], s[22:23], v[64:65]
	v_fma_f64 v[62:63], v[10:11], s[22:23], v[62:63]
	v_add_f64 v[14:15], v[28:29], v[34:35]
	v_add_f64 v[16:17], v[36:37], -v[66:67]
	v_add_f64 v[18:19], v[42:43], -v[22:23]
	v_add_f64 v[20:21], v[24:25], v[44:45]
	v_add_f64 v[22:23], v[22:23], v[42:43]
	v_add_f64 v[24:25], v[44:45], -v[24:25]
	v_add_f64 v[26:27], v[34:35], -v[28:29]
	v_add_f64 v[28:29], v[66:67], v[36:37]
	v_add_f64 v[34:35], v[58:59], v[54:55]
	;; [unrolled: 1-line block ×3, first 2 shown]
	v_add_f64 v[42:43], v[58:59], -v[54:55]
	v_add_f64 v[44:45], v[60:61], -v[56:57]
	v_add_f64 v[54:55], v[74:75], v[46:47]
	v_add_f64 v[56:57], v[76:77], v[48:49]
	v_add_f64 v[46:47], v[74:75], -v[46:47]
	v_add_f64 v[48:49], v[76:77], -v[48:49]
	v_add_f64 v[58:59], v[30:31], v[38:39]
	v_add_f64 v[60:61], v[32:33], v[40:41]
	;; [unrolled: 4-line block ×3, first 2 shown]
	v_add_f64 v[66:67], v[54:55], -v[34:35]
	v_add_f64 v[68:69], v[56:57], -v[36:37]
	;; [unrolled: 1-line block ×6, first 2 shown]
	v_add_f64 v[70:71], v[30:31], v[46:47]
	v_add_f64 v[72:73], v[32:33], v[48:49]
	v_add_f64 v[74:75], v[30:31], -v[46:47]
	v_add_f64 v[76:77], v[32:33], -v[48:49]
	v_add_f64 v[38:39], v[58:59], v[38:39]
	v_add_f64 v[40:41], v[60:61], v[40:41]
	v_add_f64 v[46:47], v[46:47], -v[42:43]
	v_add_f64 v[48:49], v[48:49], -v[44:45]
	;; [unrolled: 1-line block ×4, first 2 shown]
	v_add_f64 v[42:43], v[70:71], v[42:43]
	v_add_f64 v[44:45], v[72:73], v[44:45]
	;; [unrolled: 1-line block ×4, first 2 shown]
	v_mul_f64 v[34:35], v[34:35], s[2:3]
	v_mul_f64 v[36:37], v[36:37], s[2:3]
	;; [unrolled: 1-line block ×8, first 2 shown]
	v_fma_f64 v[38:39], v[38:39], s[14:15], v[6:7]
	v_fma_f64 v[40:41], v[40:41], s[14:15], v[8:9]
	;; [unrolled: 1-line block ×4, first 2 shown]
	v_fma_f64 v[58:59], v[66:67], s[16:17], -v[58:59]
	v_fma_f64 v[60:61], v[68:69], s[16:17], -v[60:61]
	;; [unrolled: 1-line block ×4, first 2 shown]
	v_fma_f64 v[66:67], v[30:31], s[20:21], v[70:71]
	v_fma_f64 v[68:69], v[32:33], s[20:21], v[72:73]
	v_fma_f64 v[46:47], v[46:47], s[8:9], -v[70:71]
	v_fma_f64 v[48:49], v[48:49], s[8:9], -v[72:73]
	;; [unrolled: 1-line block ×4, first 2 shown]
	v_add_f64 v[54:55], v[54:55], v[38:39]
	v_add_f64 v[56:57], v[56:57], v[40:41]
	;; [unrolled: 1-line block ×6, first 2 shown]
	v_fma_f64 v[68:69], v[44:45], s[22:23], v[68:69]
	v_fma_f64 v[66:67], v[42:43], s[22:23], v[66:67]
	;; [unrolled: 1-line block ×6, first 2 shown]
	v_add_f64 v[10:11], v[64:65], v[50:51]
	v_add_f64 v[12:13], v[52:53], -v[62:63]
	v_add_f64 v[30:31], v[50:51], -v[64:65]
	v_add_f64 v[32:33], v[62:63], v[52:53]
	v_add_f64 v[34:35], v[68:69], v[54:55]
	v_add_f64 v[36:37], v[56:57], -v[66:67]
	v_add_f64 v[38:39], v[74:75], v[70:71]
	v_add_f64 v[40:41], v[72:73], -v[76:77]
	v_add_f64 v[42:43], v[58:59], -v[48:49]
	v_add_f64 v[44:45], v[78:79], v[60:61]
	v_add_f64 v[46:47], v[48:49], v[58:59]
	v_add_f64 v[48:49], v[60:61], -v[78:79]
	v_add_f64 v[50:51], v[70:71], -v[74:75]
	v_add_f64 v[52:53], v[76:77], v[72:73]
	v_add_f64 v[54:55], v[54:55], -v[68:69]
	v_add_f64 v[56:57], v[66:67], v[56:57]
	s_barrier
	ds_write_b128 v231, v[2:5]
	ds_write_b128 v231, v[10:13] offset:352
	ds_write_b128 v231, v[14:17] offset:704
	;; [unrolled: 1-line block ×6, first 2 shown]
	ds_write_b128 v229, v[6:9]
	ds_write_b128 v229, v[34:37] offset:352
	ds_write_b128 v229, v[38:41] offset:704
	;; [unrolled: 1-line block ×6, first 2 shown]
	s_waitcnt lgkmcnt(0)
	s_barrier
	ds_read_b128 v[2:5], v230
	ds_read_b128 v[6:9], v230 offset:1232
	ds_read_b128 v[10:13], v230 offset:2464
	;; [unrolled: 1-line block ×11, first 2 shown]
	s_waitcnt lgkmcnt(9)
	v_mul_f64 v[58:59], v[198:199], v[12:13]
	v_mul_f64 v[60:61], v[198:199], v[10:11]
	s_waitcnt lgkmcnt(7)
	v_mul_f64 v[62:63], v[194:195], v[20:21]
	v_mul_f64 v[64:65], v[194:195], v[18:19]
	;; [unrolled: 3-line block ×3, first 2 shown]
	ds_read_b128 v[50:53], v230 offset:14784
	ds_read_b128 v[54:57], v230 offset:16016
	v_mul_f64 v[70:71], v[226:227], v[16:17]
	v_fma_f64 v[10:11], v[196:197], v[10:11], v[58:59]
	v_fma_f64 v[12:13], v[196:197], v[12:13], -v[60:61]
	v_fma_f64 v[18:19], v[192:193], v[18:19], v[62:63]
	v_fma_f64 v[20:21], v[192:193], v[20:21], -v[64:65]
	v_fma_f64 v[26:27], v[188:189], v[26:27], v[66:67]
	v_fma_f64 v[28:29], v[188:189], v[28:29], -v[68:69]
	s_waitcnt lgkmcnt(5)
	v_mul_f64 v[58:59], v[186:187], v[36:37]
	v_mul_f64 v[60:61], v[186:187], v[34:35]
	s_waitcnt lgkmcnt(3)
	v_mul_f64 v[62:63], v[210:211], v[44:45]
	v_mul_f64 v[64:65], v[210:211], v[42:43]
	;; [unrolled: 3-line block ×3, first 2 shown]
	v_mul_f64 v[72:73], v[226:227], v[14:15]
	s_mul_hi_u32 s6, s4, 0xffffe320
	v_fma_f64 v[34:35], v[184:185], v[34:35], v[58:59]
	v_fma_f64 v[36:37], v[184:185], v[36:37], -v[60:61]
	v_fma_f64 v[42:43], v[208:209], v[42:43], v[62:63]
	v_fma_f64 v[44:45], v[208:209], v[44:45], -v[64:65]
	;; [unrolled: 2-line block ×4, first 2 shown]
	v_mul_f64 v[14:15], v[222:223], v[24:25]
	v_mul_f64 v[16:17], v[222:223], v[22:23]
	;; [unrolled: 1-line block ×8, first 2 shown]
	v_fma_f64 v[74:75], v[220:221], v[22:23], v[14:15]
	v_fma_f64 v[76:77], v[220:221], v[24:25], -v[16:17]
	v_add_f64 v[22:23], v[10:11], v[50:51]
	v_add_f64 v[24:25], v[12:13], v[52:53]
	v_add_f64 v[10:11], v[10:11], -v[50:51]
	v_add_f64 v[12:13], v[12:13], -v[52:53]
	v_add_f64 v[50:51], v[18:19], v[42:43]
	v_add_f64 v[52:53], v[20:21], v[44:45]
	v_add_f64 v[18:19], v[18:19], -v[42:43]
	v_add_f64 v[20:21], v[20:21], -v[44:45]
	;; [unrolled: 4-line block ×3, first 2 shown]
	v_add_f64 v[34:35], v[50:51], v[22:23]
	v_add_f64 v[36:37], v[52:53], v[24:25]
	v_fma_f64 v[30:31], v[216:217], v[30:31], v[62:63]
	v_fma_f64 v[32:33], v[216:217], v[32:33], -v[64:65]
	v_fma_f64 v[38:39], v[212:213], v[38:39], v[66:67]
	v_fma_f64 v[40:41], v[212:213], v[40:41], -v[68:69]
	;; [unrolled: 2-line block ×3, first 2 shown]
	v_add_f64 v[62:63], v[50:51], -v[22:23]
	v_add_f64 v[64:65], v[52:53], -v[24:25]
	;; [unrolled: 1-line block ×6, first 2 shown]
	v_add_f64 v[66:67], v[26:27], v[18:19]
	v_add_f64 v[68:69], v[28:29], v[20:21]
	v_add_f64 v[70:71], v[26:27], -v[18:19]
	v_add_f64 v[72:73], v[28:29], -v[20:21]
	v_add_f64 v[34:35], v[42:43], v[34:35]
	v_add_f64 v[36:37], v[44:45], v[36:37]
	v_add_f64 v[18:19], v[18:19], -v[10:11]
	v_add_f64 v[20:21], v[20:21], -v[12:13]
	;; [unrolled: 1-line block ×4, first 2 shown]
	v_add_f64 v[10:11], v[66:67], v[10:11]
	v_add_f64 v[12:13], v[68:69], v[12:13]
	;; [unrolled: 1-line block ×4, first 2 shown]
	v_mul_f64 v[22:23], v[22:23], s[2:3]
	v_mul_f64 v[24:25], v[24:25], s[2:3]
	;; [unrolled: 1-line block ×8, first 2 shown]
	s_waitcnt lgkmcnt(0)
	v_mul_f64 v[14:15], v[202:203], v[56:57]
	v_mul_f64 v[16:17], v[202:203], v[54:55]
	v_fma_f64 v[34:35], v[34:35], s[14:15], v[2:3]
	v_fma_f64 v[36:37], v[36:37], s[14:15], v[4:5]
	;; [unrolled: 1-line block ×4, first 2 shown]
	v_fma_f64 v[42:43], v[62:63], s[16:17], -v[42:43]
	v_fma_f64 v[44:45], v[64:65], s[16:17], -v[44:45]
	v_fma_f64 v[22:23], v[62:63], s[18:19], -v[22:23]
	v_fma_f64 v[24:25], v[64:65], s[18:19], -v[24:25]
	v_fma_f64 v[62:63], v[26:27], s[20:21], v[66:67]
	v_fma_f64 v[64:65], v[28:29], s[20:21], v[68:69]
	v_fma_f64 v[18:19], v[18:19], s[8:9], -v[66:67]
	v_fma_f64 v[20:21], v[20:21], s[8:9], -v[68:69]
	;; [unrolled: 1-line block ×4, first 2 shown]
	v_add_f64 v[50:51], v[50:51], v[34:35]
	v_add_f64 v[52:53], v[52:53], v[36:37]
	;; [unrolled: 1-line block ×6, first 2 shown]
	v_fma_f64 v[66:67], v[10:11], s[22:23], v[26:27]
	v_fma_f64 v[28:29], v[12:13], s[22:23], v[28:29]
	;; [unrolled: 1-line block ×5, first 2 shown]
	v_fma_f64 v[56:57], v[200:201], v[56:57], -v[16:17]
	v_fma_f64 v[64:65], v[12:13], s[22:23], v[64:65]
	v_fma_f64 v[62:63], v[10:11], s[22:23], v[62:63]
	v_add_f64 v[16:17], v[36:37], -v[66:67]
	v_add_f64 v[14:15], v[28:29], v[34:35]
	v_add_f64 v[18:19], v[42:43], -v[22:23]
	v_add_f64 v[20:21], v[24:25], v[44:45]
	v_add_f64 v[22:23], v[22:23], v[42:43]
	v_add_f64 v[24:25], v[44:45], -v[24:25]
	v_add_f64 v[26:27], v[34:35], -v[28:29]
	v_add_f64 v[28:29], v[66:67], v[36:37]
	v_add_f64 v[34:35], v[58:59], v[54:55]
	;; [unrolled: 1-line block ×3, first 2 shown]
	v_add_f64 v[42:43], v[58:59], -v[54:55]
	v_add_f64 v[44:45], v[60:61], -v[56:57]
	v_add_f64 v[54:55], v[74:75], v[46:47]
	v_add_f64 v[56:57], v[76:77], v[48:49]
	v_add_f64 v[46:47], v[74:75], -v[46:47]
	v_add_f64 v[48:49], v[76:77], -v[48:49]
	v_add_f64 v[58:59], v[30:31], v[38:39]
	v_add_f64 v[60:61], v[32:33], v[40:41]
	;; [unrolled: 4-line block ×3, first 2 shown]
	v_add_f64 v[66:67], v[54:55], -v[34:35]
	v_add_f64 v[68:69], v[56:57], -v[36:37]
	;; [unrolled: 1-line block ×6, first 2 shown]
	v_add_f64 v[70:71], v[30:31], v[46:47]
	v_add_f64 v[72:73], v[32:33], v[48:49]
	v_add_f64 v[74:75], v[30:31], -v[46:47]
	v_add_f64 v[76:77], v[32:33], -v[48:49]
	v_add_f64 v[38:39], v[58:59], v[38:39]
	v_add_f64 v[40:41], v[60:61], v[40:41]
	v_add_f64 v[46:47], v[46:47], -v[42:43]
	v_add_f64 v[48:49], v[48:49], -v[44:45]
	;; [unrolled: 1-line block ×4, first 2 shown]
	v_add_f64 v[42:43], v[70:71], v[42:43]
	v_add_f64 v[44:45], v[72:73], v[44:45]
	;; [unrolled: 1-line block ×4, first 2 shown]
	v_mul_f64 v[34:35], v[34:35], s[2:3]
	v_mul_f64 v[36:37], v[36:37], s[2:3]
	;; [unrolled: 1-line block ×8, first 2 shown]
	v_fma_f64 v[38:39], v[38:39], s[14:15], v[6:7]
	v_fma_f64 v[40:41], v[40:41], s[14:15], v[8:9]
	;; [unrolled: 1-line block ×4, first 2 shown]
	v_fma_f64 v[58:59], v[66:67], s[16:17], -v[58:59]
	v_fma_f64 v[60:61], v[68:69], s[16:17], -v[60:61]
	;; [unrolled: 1-line block ×4, first 2 shown]
	v_fma_f64 v[66:67], v[30:31], s[20:21], v[70:71]
	v_fma_f64 v[68:69], v[32:33], s[20:21], v[72:73]
	v_fma_f64 v[46:47], v[46:47], s[8:9], -v[70:71]
	v_fma_f64 v[48:49], v[48:49], s[8:9], -v[72:73]
	;; [unrolled: 1-line block ×4, first 2 shown]
	v_add_f64 v[54:55], v[54:55], v[38:39]
	v_add_f64 v[56:57], v[56:57], v[40:41]
	;; [unrolled: 1-line block ×6, first 2 shown]
	v_fma_f64 v[68:69], v[44:45], s[22:23], v[68:69]
	v_fma_f64 v[66:67], v[42:43], s[22:23], v[66:67]
	;; [unrolled: 1-line block ×6, first 2 shown]
	v_add_f64 v[10:11], v[64:65], v[50:51]
	v_add_f64 v[12:13], v[52:53], -v[62:63]
	v_add_f64 v[30:31], v[50:51], -v[64:65]
	v_add_f64 v[32:33], v[62:63], v[52:53]
	v_add_f64 v[34:35], v[68:69], v[54:55]
	v_add_f64 v[36:37], v[56:57], -v[66:67]
	v_add_f64 v[38:39], v[74:75], v[70:71]
	v_add_f64 v[40:41], v[72:73], -v[76:77]
	v_add_f64 v[42:43], v[58:59], -v[48:49]
	v_add_f64 v[44:45], v[78:79], v[60:61]
	v_add_f64 v[46:47], v[48:49], v[58:59]
	v_add_f64 v[48:49], v[60:61], -v[78:79]
	v_add_f64 v[50:51], v[70:71], -v[74:75]
	v_add_f64 v[52:53], v[76:77], v[72:73]
	v_add_f64 v[54:55], v[54:55], -v[68:69]
	v_add_f64 v[56:57], v[66:67], v[56:57]
	ds_write_b128 v230, v[2:5]
	ds_write_b128 v230, v[10:13] offset:2464
	ds_write_b128 v230, v[14:17] offset:4928
	;; [unrolled: 1-line block ×13, first 2 shown]
	s_waitcnt lgkmcnt(0)
	s_barrier
	ds_read_b128 v[2:5], v230
	ds_read_b128 v[6:9], v230 offset:1232
	buffer_load_dword v15, off, s[40:43], 0 offset:216 ; 4-byte Folded Reload
	buffer_load_dword v16, off, s[40:43], 0 offset:220 ; 4-byte Folded Reload
	;; [unrolled: 1-line block ×4, first 2 shown]
	v_mov_b32_e32 v24, s13
	s_sub_i32 s6, s6, s4
	s_waitcnt lgkmcnt(1)
	v_mad_u64_u32 v[12:13], s[0:1], s7, v228, v[1:2]
	v_mov_b32_e32 v1, v12
	v_lshlrev_b64 v[0:1], 4, v[0:1]
	v_add_co_u32_e32 v25, vcc, s12, v0
	v_addc_co_u32_e32 v24, vcc, v24, v1, vcc
	s_waitcnt vmcnt(0)
	v_mul_f64 v[10:11], v[17:18], v[4:5]
	v_mul_f64 v[13:14], v[17:18], v[2:3]
	v_fma_f64 v[10:11], v[15:16], v[2:3], v[10:11]
	buffer_load_dword v3, off, s[40:43], 0  ; 4-byte Folded Reload
	v_fma_f64 v[12:13], v[15:16], v[4:5], -v[13:14]
	s_waitcnt vmcnt(0)
	v_mad_u64_u32 v[18:19], s[0:1], s4, v3, 0
	s_mov_b32 s0, 0xdbe74d6b
	s_mov_b32 s1, 0x3f4e65a3
	v_mov_b32_e32 v2, v19
	v_mad_u64_u32 v[14:15], s[2:3], s5, v3, v[2:3]
	ds_read_b128 v[2:5], v230 offset:8624
	v_mul_f64 v[10:11], v[10:11], s[0:1]
	v_mov_b32_e32 v19, v14
	ds_read_b128 v[14:17], v230 offset:7392
	buffer_load_dword v26, off, s[40:43], 0 offset:40 ; 4-byte Folded Reload
	buffer_load_dword v27, off, s[40:43], 0 offset:44 ; 4-byte Folded Reload
	;; [unrolled: 1-line block ×4, first 2 shown]
	v_mul_f64 v[12:13], v[12:13], s[0:1]
	s_mul_i32 s2, s5, 0x21b0
	s_mul_hi_u32 s3, s4, 0x21b0
	s_add_i32 s2, s3, s2
	s_mul_i32 s3, s4, 0x21b0
	s_mulk_i32 s5, 0xe320
	s_add_i32 s5, s6, s5
	s_mulk_i32 s4, 0xe320
	v_mov_b32_e32 v30, s5
	s_waitcnt vmcnt(0) lgkmcnt(1)
	v_mul_f64 v[20:21], v[28:29], v[4:5]
	v_mul_f64 v[22:23], v[28:29], v[2:3]
	v_fma_f64 v[0:1], v[26:27], v[2:3], v[20:21]
	v_lshlrev_b64 v[2:3], 4, v[18:19]
	v_fma_f64 v[4:5], v[26:27], v[4:5], -v[22:23]
	v_add_co_u32_e32 v18, vcc, v25, v2
	v_addc_co_u32_e32 v19, vcc, v24, v3, vcc
	global_store_dwordx4 v[18:19], v[10:13], off
	buffer_load_dword v21, off, s[40:43], 0 offset:8 ; 4-byte Folded Reload
	buffer_load_dword v22, off, s[40:43], 0 offset:12 ; 4-byte Folded Reload
	;; [unrolled: 1-line block ×4, first 2 shown]
	v_mul_f64 v[0:1], v[0:1], s[0:1]
	v_mul_f64 v[2:3], v[4:5], s[0:1]
	v_mov_b32_e32 v20, s2
	s_waitcnt vmcnt(0)
	v_mul_f64 v[10:11], v[23:24], v[8:9]
	v_mul_f64 v[12:13], v[23:24], v[6:7]
	v_fma_f64 v[4:5], v[21:22], v[6:7], v[10:11]
	v_fma_f64 v[6:7], v[21:22], v[8:9], -v[12:13]
	v_add_co_u32_e32 v12, vcc, s3, v18
	v_addc_co_u32_e32 v13, vcc, v19, v20, vcc
	global_store_dwordx4 v[12:13], v[0:3], off
	ds_read_b128 v[0:3], v230 offset:9856
	ds_read_b128 v[8:11], v230 offset:11088
	buffer_load_dword v26, off, s[40:43], 0 offset:24 ; 4-byte Folded Reload
	buffer_load_dword v27, off, s[40:43], 0 offset:28 ; 4-byte Folded Reload
	;; [unrolled: 1-line block ×4, first 2 shown]
	ds_read_b128 v[18:21], v230 offset:2464
	v_mul_f64 v[4:5], v[4:5], s[0:1]
	v_mul_f64 v[6:7], v[6:7], s[0:1]
	v_add_co_u32_e32 v12, vcc, s4, v12
	v_addc_co_u32_e32 v13, vcc, v13, v30, vcc
	v_mov_b32_e32 v30, s2
	s_waitcnt vmcnt(0) lgkmcnt(2)
	v_mul_f64 v[22:23], v[28:29], v[2:3]
	v_mul_f64 v[24:25], v[28:29], v[0:1]
	v_fma_f64 v[22:23], v[26:27], v[0:1], v[22:23]
	v_fma_f64 v[24:25], v[26:27], v[2:3], -v[24:25]
	ds_read_b128 v[0:3], v230 offset:3696
	buffer_load_dword v31, off, s[40:43], 0 offset:88 ; 4-byte Folded Reload
	buffer_load_dword v32, off, s[40:43], 0 offset:92 ; 4-byte Folded Reload
	buffer_load_dword v33, off, s[40:43], 0 offset:96 ; 4-byte Folded Reload
	buffer_load_dword v34, off, s[40:43], 0 offset:100 ; 4-byte Folded Reload
	s_waitcnt vmcnt(0) lgkmcnt(1)
	v_mul_f64 v[26:27], v[33:34], v[20:21]
	v_mul_f64 v[28:29], v[33:34], v[18:19]
	global_store_dwordx4 v[12:13], v[4:7], off
	v_add_co_u32_e32 v12, vcc, s3, v12
	v_mul_f64 v[4:5], v[22:23], s[0:1]
	v_mul_f64 v[6:7], v[24:25], s[0:1]
	v_addc_co_u32_e32 v13, vcc, v13, v30, vcc
	v_fma_f64 v[18:19], v[31:32], v[18:19], v[26:27]
	v_fma_f64 v[20:21], v[31:32], v[20:21], -v[28:29]
	buffer_load_dword v31, off, s[40:43], 0 offset:56 ; 4-byte Folded Reload
	buffer_load_dword v32, off, s[40:43], 0 offset:60 ; 4-byte Folded Reload
	;; [unrolled: 1-line block ×4, first 2 shown]
	v_mov_b32_e32 v26, s5
	global_store_dwordx4 v[12:13], v[4:7], off
	v_add_co_u32_e32 v12, vcc, s4, v12
	v_mul_f64 v[4:5], v[18:19], s[0:1]
	v_mul_f64 v[6:7], v[20:21], s[0:1]
	v_addc_co_u32_e32 v13, vcc, v13, v26, vcc
	v_mov_b32_e32 v26, s2
	s_waitcnt vmcnt(1)
	v_mul_f64 v[22:23], v[33:34], v[10:11]
	v_mul_f64 v[24:25], v[33:34], v[8:9]
	v_fma_f64 v[8:9], v[31:32], v[8:9], v[22:23]
	v_fma_f64 v[10:11], v[31:32], v[10:11], -v[24:25]
	buffer_load_dword v22, off, s[40:43], 0 offset:72 ; 4-byte Folded Reload
	buffer_load_dword v23, off, s[40:43], 0 offset:76 ; 4-byte Folded Reload
	;; [unrolled: 1-line block ×4, first 2 shown]
	s_waitcnt vmcnt(0) lgkmcnt(0)
	v_mul_f64 v[18:19], v[24:25], v[2:3]
	v_mul_f64 v[20:21], v[24:25], v[0:1]
	global_store_dwordx4 v[12:13], v[4:7], off
	v_add_co_u32_e32 v12, vcc, s3, v12
	v_mul_f64 v[4:5], v[8:9], s[0:1]
	v_mul_f64 v[6:7], v[10:11], s[0:1]
	ds_read_b128 v[8:11], v230 offset:12320
	v_fma_f64 v[18:19], v[22:23], v[0:1], v[18:19]
	v_fma_f64 v[20:21], v[22:23], v[2:3], -v[20:21]
	ds_read_b128 v[0:3], v230 offset:13552
	buffer_load_dword v27, off, s[40:43], 0 offset:152 ; 4-byte Folded Reload
	buffer_load_dword v28, off, s[40:43], 0 offset:156 ; 4-byte Folded Reload
	;; [unrolled: 1-line block ×4, first 2 shown]
	v_addc_co_u32_e32 v13, vcc, v13, v26, vcc
	global_store_dwordx4 v[12:13], v[4:7], off
	v_add_co_u32_e32 v12, vcc, s4, v12
	v_mul_f64 v[4:5], v[18:19], s[0:1]
	v_mul_f64 v[6:7], v[20:21], s[0:1]
	ds_read_b128 v[18:21], v230 offset:4928
	s_waitcnt vmcnt(1) lgkmcnt(2)
	v_mul_f64 v[22:23], v[29:30], v[10:11]
	v_mul_f64 v[24:25], v[29:30], v[8:9]
	v_mov_b32_e32 v30, s5
	v_addc_co_u32_e32 v13, vcc, v13, v30, vcc
	v_mov_b32_e32 v30, s2
	v_fma_f64 v[22:23], v[27:28], v[8:9], v[22:23]
	v_fma_f64 v[24:25], v[27:28], v[10:11], -v[24:25]
	ds_read_b128 v[8:11], v230 offset:6160
	buffer_load_dword v31, off, s[40:43], 0 offset:184 ; 4-byte Folded Reload
	buffer_load_dword v32, off, s[40:43], 0 offset:188 ; 4-byte Folded Reload
	;; [unrolled: 1-line block ×4, first 2 shown]
	s_waitcnt vmcnt(0) lgkmcnt(1)
	v_mul_f64 v[26:27], v[33:34], v[20:21]
	v_mul_f64 v[28:29], v[33:34], v[18:19]
	global_store_dwordx4 v[12:13], v[4:7], off
	v_add_co_u32_e32 v12, vcc, s3, v12
	v_mul_f64 v[4:5], v[22:23], s[0:1]
	v_mul_f64 v[6:7], v[24:25], s[0:1]
	v_addc_co_u32_e32 v13, vcc, v13, v30, vcc
	v_fma_f64 v[18:19], v[31:32], v[18:19], v[26:27]
	v_fma_f64 v[20:21], v[31:32], v[20:21], -v[28:29]
	buffer_load_dword v31, off, s[40:43], 0 offset:104 ; 4-byte Folded Reload
	buffer_load_dword v32, off, s[40:43], 0 offset:108 ; 4-byte Folded Reload
	;; [unrolled: 1-line block ×4, first 2 shown]
	v_mov_b32_e32 v26, s5
	global_store_dwordx4 v[12:13], v[4:7], off
	v_add_co_u32_e32 v12, vcc, s4, v12
	v_mul_f64 v[4:5], v[18:19], s[0:1]
	v_mul_f64 v[6:7], v[20:21], s[0:1]
	v_addc_co_u32_e32 v13, vcc, v13, v26, vcc
	v_mov_b32_e32 v26, s2
	s_waitcnt vmcnt(1)
	v_mul_f64 v[22:23], v[33:34], v[2:3]
	v_mul_f64 v[24:25], v[33:34], v[0:1]
	v_fma_f64 v[0:1], v[31:32], v[0:1], v[22:23]
	v_fma_f64 v[2:3], v[31:32], v[2:3], -v[24:25]
	buffer_load_dword v22, off, s[40:43], 0 offset:136 ; 4-byte Folded Reload
	buffer_load_dword v23, off, s[40:43], 0 offset:140 ; 4-byte Folded Reload
	;; [unrolled: 1-line block ×4, first 2 shown]
	v_mul_f64 v[0:1], v[0:1], s[0:1]
	global_store_dwordx4 v[12:13], v[4:7], off
	ds_read_b128 v[4:7], v230 offset:14784
	v_mul_f64 v[2:3], v[2:3], s[0:1]
	v_add_co_u32_e32 v12, vcc, s3, v12
	v_addc_co_u32_e32 v13, vcc, v13, v26, vcc
	s_waitcnt vmcnt(1) lgkmcnt(1)
	v_mul_f64 v[18:19], v[24:25], v[10:11]
	v_mul_f64 v[20:21], v[24:25], v[8:9]
	v_fma_f64 v[18:19], v[22:23], v[8:9], v[18:19]
	v_fma_f64 v[20:21], v[22:23], v[10:11], -v[20:21]
	ds_read_b128 v[8:11], v230 offset:16016
	buffer_load_dword v27, off, s[40:43], 0 offset:120 ; 4-byte Folded Reload
	buffer_load_dword v28, off, s[40:43], 0 offset:124 ; 4-byte Folded Reload
	;; [unrolled: 1-line block ×4, first 2 shown]
	s_waitcnt vmcnt(0) lgkmcnt(1)
	v_mul_f64 v[22:23], v[29:30], v[6:7]
	v_mul_f64 v[24:25], v[29:30], v[4:5]
	global_store_dwordx4 v[12:13], v[0:3], off
	v_add_co_u32_e32 v12, vcc, s4, v12
	v_mul_f64 v[0:1], v[18:19], s[0:1]
	v_mov_b32_e32 v18, s5
	v_mul_f64 v[2:3], v[20:21], s[0:1]
	v_fma_f64 v[4:5], v[27:28], v[4:5], v[22:23]
	v_fma_f64 v[6:7], v[27:28], v[6:7], -v[24:25]
	buffer_load_dword v27, off, s[40:43], 0 offset:168 ; 4-byte Folded Reload
	buffer_load_dword v28, off, s[40:43], 0 offset:172 ; 4-byte Folded Reload
	;; [unrolled: 1-line block ×4, first 2 shown]
	v_addc_co_u32_e32 v13, vcc, v13, v18, vcc
	s_waitcnt vmcnt(0)
	v_mul_f64 v[18:19], v[29:30], v[16:17]
	v_mul_f64 v[20:21], v[29:30], v[14:15]
	buffer_load_dword v29, off, s[40:43], 0 offset:200 ; 4-byte Folded Reload
	buffer_load_dword v30, off, s[40:43], 0 offset:204 ; 4-byte Folded Reload
	;; [unrolled: 1-line block ×4, first 2 shown]
	s_waitcnt vmcnt(0) lgkmcnt(0)
	v_mul_f64 v[22:23], v[31:32], v[10:11]
	v_mul_f64 v[24:25], v[31:32], v[8:9]
	global_store_dwordx4 v[12:13], v[0:3], off
	v_add_co_u32_e32 v12, vcc, s3, v12
	v_mul_f64 v[0:1], v[4:5], s[0:1]
	v_mul_f64 v[2:3], v[6:7], s[0:1]
	v_fma_f64 v[4:5], v[27:28], v[14:15], v[18:19]
	v_fma_f64 v[6:7], v[27:28], v[16:17], -v[20:21]
	v_fma_f64 v[8:9], v[29:30], v[8:9], v[22:23]
	v_fma_f64 v[10:11], v[29:30], v[10:11], -v[24:25]
	v_addc_co_u32_e32 v13, vcc, v13, v26, vcc
	v_mov_b32_e32 v14, s5
	global_store_dwordx4 v[12:13], v[0:3], off
	s_nop 0
	v_mul_f64 v[0:1], v[4:5], s[0:1]
	v_mul_f64 v[2:3], v[6:7], s[0:1]
	;; [unrolled: 1-line block ×4, first 2 shown]
	v_add_co_u32_e32 v8, vcc, s4, v12
	v_addc_co_u32_e32 v9, vcc, v13, v14, vcc
	global_store_dwordx4 v[8:9], v[0:3], off
	s_nop 0
	v_mov_b32_e32 v1, s2
	v_add_co_u32_e32 v0, vcc, s3, v8
	v_addc_co_u32_e32 v1, vcc, v9, v1, vcc
	global_store_dwordx4 v[0:1], v[4:7], off
.LBB0_10:
	s_endpgm
	.section	.rodata,"a",@progbits
	.p2align	6, 0x0
	.amdhsa_kernel bluestein_single_fwd_len1078_dim1_dp_op_CI_CI
		.amdhsa_group_segment_fixed_size 51744
		.amdhsa_private_segment_fixed_size 416
		.amdhsa_kernarg_size 104
		.amdhsa_user_sgpr_count 6
		.amdhsa_user_sgpr_private_segment_buffer 1
		.amdhsa_user_sgpr_dispatch_ptr 0
		.amdhsa_user_sgpr_queue_ptr 0
		.amdhsa_user_sgpr_kernarg_segment_ptr 1
		.amdhsa_user_sgpr_dispatch_id 0
		.amdhsa_user_sgpr_flat_scratch_init 0
		.amdhsa_user_sgpr_private_segment_size 0
		.amdhsa_uses_dynamic_stack 0
		.amdhsa_system_sgpr_private_segment_wavefront_offset 1
		.amdhsa_system_sgpr_workgroup_id_x 1
		.amdhsa_system_sgpr_workgroup_id_y 0
		.amdhsa_system_sgpr_workgroup_id_z 0
		.amdhsa_system_sgpr_workgroup_info 0
		.amdhsa_system_vgpr_workitem_id 0
		.amdhsa_next_free_vgpr 256
		.amdhsa_next_free_sgpr 44
		.amdhsa_reserve_vcc 1
		.amdhsa_reserve_flat_scratch 0
		.amdhsa_float_round_mode_32 0
		.amdhsa_float_round_mode_16_64 0
		.amdhsa_float_denorm_mode_32 3
		.amdhsa_float_denorm_mode_16_64 3
		.amdhsa_dx10_clamp 1
		.amdhsa_ieee_mode 1
		.amdhsa_fp16_overflow 0
		.amdhsa_exception_fp_ieee_invalid_op 0
		.amdhsa_exception_fp_denorm_src 0
		.amdhsa_exception_fp_ieee_div_zero 0
		.amdhsa_exception_fp_ieee_overflow 0
		.amdhsa_exception_fp_ieee_underflow 0
		.amdhsa_exception_fp_ieee_inexact 0
		.amdhsa_exception_int_div_zero 0
	.end_amdhsa_kernel
	.text
.Lfunc_end0:
	.size	bluestein_single_fwd_len1078_dim1_dp_op_CI_CI, .Lfunc_end0-bluestein_single_fwd_len1078_dim1_dp_op_CI_CI
                                        ; -- End function
	.section	.AMDGPU.csdata,"",@progbits
; Kernel info:
; codeLenInByte = 27204
; NumSgprs: 48
; NumVgprs: 256
; ScratchSize: 416
; MemoryBound: 0
; FloatMode: 240
; IeeeMode: 1
; LDSByteSize: 51744 bytes/workgroup (compile time only)
; SGPRBlocks: 5
; VGPRBlocks: 63
; NumSGPRsForWavesPerEU: 48
; NumVGPRsForWavesPerEU: 256
; Occupancy: 1
; WaveLimiterHint : 1
; COMPUTE_PGM_RSRC2:SCRATCH_EN: 1
; COMPUTE_PGM_RSRC2:USER_SGPR: 6
; COMPUTE_PGM_RSRC2:TRAP_HANDLER: 0
; COMPUTE_PGM_RSRC2:TGID_X_EN: 1
; COMPUTE_PGM_RSRC2:TGID_Y_EN: 0
; COMPUTE_PGM_RSRC2:TGID_Z_EN: 0
; COMPUTE_PGM_RSRC2:TIDIG_COMP_CNT: 0
	.type	__hip_cuid_7ac0899a14d17ad0,@object ; @__hip_cuid_7ac0899a14d17ad0
	.section	.bss,"aw",@nobits
	.globl	__hip_cuid_7ac0899a14d17ad0
__hip_cuid_7ac0899a14d17ad0:
	.byte	0                               ; 0x0
	.size	__hip_cuid_7ac0899a14d17ad0, 1

	.ident	"AMD clang version 19.0.0git (https://github.com/RadeonOpenCompute/llvm-project roc-6.4.0 25133 c7fe45cf4b819c5991fe208aaa96edf142730f1d)"
	.section	".note.GNU-stack","",@progbits
	.addrsig
	.addrsig_sym __hip_cuid_7ac0899a14d17ad0
	.amdgpu_metadata
---
amdhsa.kernels:
  - .args:
      - .actual_access:  read_only
        .address_space:  global
        .offset:         0
        .size:           8
        .value_kind:     global_buffer
      - .actual_access:  read_only
        .address_space:  global
        .offset:         8
        .size:           8
        .value_kind:     global_buffer
      - .actual_access:  read_only
        .address_space:  global
        .offset:         16
        .size:           8
        .value_kind:     global_buffer
      - .actual_access:  read_only
        .address_space:  global
        .offset:         24
        .size:           8
        .value_kind:     global_buffer
      - .actual_access:  read_only
        .address_space:  global
        .offset:         32
        .size:           8
        .value_kind:     global_buffer
      - .offset:         40
        .size:           8
        .value_kind:     by_value
      - .address_space:  global
        .offset:         48
        .size:           8
        .value_kind:     global_buffer
      - .address_space:  global
        .offset:         56
        .size:           8
        .value_kind:     global_buffer
      - .address_space:  global
        .offset:         64
        .size:           8
        .value_kind:     global_buffer
      - .address_space:  global
        .offset:         72
        .size:           8
        .value_kind:     global_buffer
      - .offset:         80
        .size:           4
        .value_kind:     by_value
      - .address_space:  global
        .offset:         88
        .size:           8
        .value_kind:     global_buffer
      - .address_space:  global
        .offset:         96
        .size:           8
        .value_kind:     global_buffer
    .group_segment_fixed_size: 51744
    .kernarg_segment_align: 8
    .kernarg_segment_size: 104
    .language:       OpenCL C
    .language_version:
      - 2
      - 0
    .max_flat_workgroup_size: 231
    .name:           bluestein_single_fwd_len1078_dim1_dp_op_CI_CI
    .private_segment_fixed_size: 416
    .sgpr_count:     48
    .sgpr_spill_count: 0
    .symbol:         bluestein_single_fwd_len1078_dim1_dp_op_CI_CI.kd
    .uniform_work_group_size: 1
    .uses_dynamic_stack: false
    .vgpr_count:     256
    .vgpr_spill_count: 105
    .wavefront_size: 64
amdhsa.target:   amdgcn-amd-amdhsa--gfx906
amdhsa.version:
  - 1
  - 2
...

	.end_amdgpu_metadata
